;; amdgpu-corpus repo=ROCm/rocFFT kind=compiled arch=gfx1030 opt=O3
	.text
	.amdgcn_target "amdgcn-amd-amdhsa--gfx1030"
	.amdhsa_code_object_version 6
	.protected	bluestein_single_fwd_len884_dim1_dp_op_CI_CI ; -- Begin function bluestein_single_fwd_len884_dim1_dp_op_CI_CI
	.globl	bluestein_single_fwd_len884_dim1_dp_op_CI_CI
	.p2align	8
	.type	bluestein_single_fwd_len884_dim1_dp_op_CI_CI,@function
bluestein_single_fwd_len884_dim1_dp_op_CI_CI: ; @bluestein_single_fwd_len884_dim1_dp_op_CI_CI
; %bb.0:
	s_load_dwordx4 s[12:15], s[4:5], 0x28
	v_mul_u32_u24_e32 v1, 0x3c4, v0
	s_mov_b64 s[62:63], s[2:3]
	s_mov_b64 s[60:61], s[0:1]
	s_add_u32 s60, s60, s7
	v_lshrrev_b32_e32 v1, 16, v1
	s_addc_u32 s61, s61, 0
	v_mad_u64_u32 v[235:236], null, s6, 3, v[1:2]
	v_mov_b32_e32 v236, 0
                                        ; kill: def $vgpr2 killed $sgpr0 killed $exec
	s_mov_b32 s0, exec_lo
	s_waitcnt lgkmcnt(0)
	v_cmpx_gt_u64_e64 s[12:13], v[235:236]
	s_cbranch_execz .LBB0_18
; %bb.1:
	s_clause 0x1
	s_load_dwordx4 s[8:11], s[4:5], 0x18
	s_load_dwordx4 s[0:3], s[4:5], 0x0
	v_mul_lo_u16 v1, 0x44, v1
	s_mov_b32 s30, 0x66966769
	s_mov_b32 s31, 0xbfefc445
	;; [unrolled: 1-line block ×4, first 2 shown]
	v_sub_nc_u16 v25, v0, v1
	s_mov_b32 s28, 0x4bc48dbf
	s_mov_b32 s21, 0xbfddbe06
	;; [unrolled: 1-line block ×4, first 2 shown]
	v_and_b32_e32 v236, 0xffff, v25
	s_mov_b32 s23, 0xbfe5384d
	s_mov_b32 s29, 0xbfcea1e5
	;; [unrolled: 1-line block ×4, first 2 shown]
	v_lshlrev_b32_e32 v24, 4, v236
	s_mov_b32 s13, 0x3fe22d96
	s_mov_b32 s25, 0xbfef11f4
	s_waitcnt lgkmcnt(0)
	s_load_dwordx4 s[16:19], s[8:9], 0x0
	s_mov_b32 s37, 0x3fe5384d
	global_load_dwordx4 v[237:240], v24, s[0:1]
	s_mov_b32 s36, s22
	s_mov_b32 s35, 0x3fefc445
	;; [unrolled: 1-line block ×4, first 2 shown]
	s_load_dwordx2 s[4:5], s[4:5], 0x38
	s_waitcnt lgkmcnt(0)
	v_mad_u64_u32 v[0:1], null, s18, v235, 0
	v_mad_u64_u32 v[2:3], null, s16, v236, 0
	s_mul_i32 s7, s17, 0x440
	s_mul_hi_u32 s8, s16, 0x440
	s_mul_i32 s6, s16, 0x440
	s_add_i32 s7, s8, s7
	v_add_co_u32 v218, s8, s0, v24
	v_mad_u64_u32 v[4:5], null, s19, v235, v[1:2]
	v_add_co_ci_u32_e64 v219, null, s1, 0, s8
	s_mov_b32 s18, 0x2ef20147
	s_mov_b32 s19, 0xbfedeba7
	;; [unrolled: 1-line block ×3, first 2 shown]
	v_mad_u64_u32 v[5:6], null, s17, v236, v[3:4]
	v_mov_b32_e32 v1, v4
	s_mov_b32 s16, 0xd0032e0c
	s_mov_b32 s17, 0xbfe7f3cc
	v_lshlrev_b64 v[0:1], 4, v[0:1]
	v_mov_b32_e32 v3, v5
	v_add_co_u32 v0, vcc_lo, s14, v0
	v_lshlrev_b64 v[2:3], 4, v[2:3]
	v_add_co_ci_u32_e32 v1, vcc_lo, s15, v1, vcc_lo
	s_mov_b32 s14, 0xe00740e9
	s_mov_b32 s15, 0x3fec55a7
	v_add_co_u32 v0, vcc_lo, v0, v2
	v_add_co_ci_u32_e32 v1, vcc_lo, v1, v3, vcc_lo
	v_add_co_u32 v8, vcc_lo, v0, s6
	v_add_co_ci_u32_e32 v9, vcc_lo, s7, v1, vcc_lo
	global_load_dwordx4 v[0:3], v[0:1], off
	global_load_dwordx4 v[46:49], v24, s[0:1] offset:1088
	global_load_dwordx4 v[4:7], v[8:9], off
	v_add_co_u32 v12, vcc_lo, 0x800, v218
	v_add_co_ci_u32_e32 v13, vcc_lo, 0, v219, vcc_lo
	v_add_co_u32 v8, vcc_lo, v8, s6
	v_add_co_ci_u32_e32 v9, vcc_lo, s7, v9, vcc_lo
	global_load_dwordx4 v[62:65], v[12:13], off offset:128
	v_add_co_u32 v16, vcc_lo, v8, s6
	v_add_co_ci_u32_e32 v17, vcc_lo, s7, v9, vcc_lo
	global_load_dwordx4 v[8:11], v[8:9], off
	global_load_dwordx4 v[38:41], v[12:13], off offset:1216
	global_load_dwordx4 v[12:15], v[16:17], off
	v_add_co_u32 v20, vcc_lo, 0x1000, v218
	v_add_co_ci_u32_e32 v21, vcc_lo, 0, v219, vcc_lo
	v_add_co_u32 v16, vcc_lo, v16, s6
	v_add_co_ci_u32_e32 v17, vcc_lo, s7, v17, vcc_lo
	global_load_dwordx4 v[70:73], v[20:21], off offset:256
	v_add_co_u32 v26, vcc_lo, v16, s6
	v_add_co_ci_u32_e32 v27, vcc_lo, s7, v17, vcc_lo
	global_load_dwordx4 v[16:19], v[16:17], off
	global_load_dwordx4 v[42:45], v[20:21], off offset:1344
	global_load_dwordx4 v[20:23], v[26:27], off
	s_mov_b32 s0, 0xebaa3ed8
	s_mov_b32 s1, 0x3fbedb7d
	s_waitcnt vmcnt(10)
	v_mul_f64 v[30:31], v[0:1], v[239:240]
	v_mul_f64 v[28:29], v[2:3], v[239:240]
	s_waitcnt vmcnt(8)
	v_mul_f64 v[32:33], v[6:7], v[48:49]
	v_mul_f64 v[34:35], v[4:5], v[48:49]
	s_waitcnt vmcnt(6)
	v_mul_f64 v[36:37], v[10:11], v[64:65]
	v_fma_f64 v[54:55], v[2:3], v[237:238], -v[30:31]
	s_waitcnt vmcnt(4)
	v_mul_f64 v[2:3], v[14:15], v[40:41]
	v_fma_f64 v[56:57], v[4:5], v[46:47], v[32:33]
	buffer_store_dword v46, off, s[60:63], 0 offset:36 ; 4-byte Folded Spill
	buffer_store_dword v47, off, s[60:63], 0 offset:40 ; 4-byte Folded Spill
	;; [unrolled: 1-line block ×4, first 2 shown]
	v_fma_f64 v[52:53], v[0:1], v[237:238], v[28:29]
	v_mul_f64 v[0:1], v[8:9], v[64:65]
	v_mul_f64 v[4:5], v[12:13], v[40:41]
	v_fma_f64 v[60:61], v[8:9], v[62:63], v[36:37]
	buffer_store_dword v62, off, s[60:63], 0 offset:68 ; 4-byte Folded Spill
	buffer_store_dword v63, off, s[60:63], 0 offset:72 ; 4-byte Folded Spill
	;; [unrolled: 1-line block ×4, first 2 shown]
	s_waitcnt vmcnt(0)
	v_mul_f64 v[8:9], v[22:23], v[44:45]
	v_fma_f64 v[64:65], v[12:13], v[38:39], v[2:3]
	buffer_store_dword v38, off, s[60:63], 0 offset:4 ; 4-byte Folded Spill
	buffer_store_dword v39, off, s[60:63], 0 offset:8 ; 4-byte Folded Spill
	;; [unrolled: 1-line block ×4, first 2 shown]
	v_mul_f64 v[2:3], v[20:21], v[44:45]
	v_fma_f64 v[58:59], v[6:7], v[46:47], -v[34:35]
	v_mul_f64 v[6:7], v[18:19], v[72:73]
	v_fma_f64 v[62:63], v[10:11], v[62:63], -v[0:1]
	;; [unrolled: 2-line block ×3, first 2 shown]
	v_add_co_u32 v4, vcc_lo, 0x1800, v218
	v_add_co_ci_u32_e32 v5, vcc_lo, 0, v219, vcc_lo
	v_fma_f64 v[68:69], v[16:17], v[70:71], v[6:7]
	buffer_store_dword v70, off, s[60:63], 0 offset:52 ; 4-byte Folded Spill
	buffer_store_dword v71, off, s[60:63], 0 offset:56 ; 4-byte Folded Spill
	;; [unrolled: 1-line block ×4, first 2 shown]
	v_fma_f64 v[72:73], v[20:21], v[42:43], v[8:9]
	global_load_dwordx4 v[12:15], v[4:5], off offset:384
	buffer_store_dword v42, off, s[60:63], 0 offset:20 ; 4-byte Folded Spill
	buffer_store_dword v43, off, s[60:63], 0 offset:24 ; 4-byte Folded Spill
	;; [unrolled: 1-line block ×4, first 2 shown]
	v_add_co_u32 v10, vcc_lo, v26, s6
	v_add_co_ci_u32_e32 v11, vcc_lo, s7, v27, vcc_lo
	v_fma_f64 v[70:71], v[18:19], v[70:71], -v[0:1]
	v_fma_f64 v[74:75], v[22:23], v[42:43], -v[2:3]
	global_load_dwordx4 v[0:3], v[10:11], off
	s_waitcnt vmcnt(0)
	v_mul_f64 v[6:7], v[2:3], v[14:15]
	v_mul_f64 v[8:9], v[0:1], v[14:15]
	v_fma_f64 v[0:1], v[0:1], v[12:13], v[6:7]
	buffer_store_dword v12, off, s[60:63], 0 offset:100 ; 4-byte Folded Spill
	buffer_store_dword v13, off, s[60:63], 0 offset:104 ; 4-byte Folded Spill
	;; [unrolled: 1-line block ×4, first 2 shown]
	v_fma_f64 v[2:3], v[2:3], v[12:13], -v[8:9]
	v_add_co_u32 v8, vcc_lo, v10, s6
	v_add_co_ci_u32_e32 v9, vcc_lo, s7, v11, vcc_lo
	global_load_dwordx4 v[14:17], v[4:5], off offset:1472
	global_load_dwordx4 v[4:7], v[8:9], off
	s_waitcnt vmcnt(0)
	v_mul_f64 v[10:11], v[6:7], v[16:17]
	v_mul_f64 v[12:13], v[4:5], v[16:17]
	v_fma_f64 v[4:5], v[4:5], v[14:15], v[10:11]
	buffer_store_dword v14, off, s[60:63], 0 offset:84 ; 4-byte Folded Spill
	buffer_store_dword v15, off, s[60:63], 0 offset:88 ; 4-byte Folded Spill
	;; [unrolled: 1-line block ×4, first 2 shown]
	v_fma_f64 v[6:7], v[6:7], v[14:15], -v[12:13]
	v_add_co_u32 v12, vcc_lo, v8, s6
	v_add_co_ci_u32_e32 v13, vcc_lo, s7, v9, vcc_lo
	v_add_co_u32 v14, vcc_lo, 0x2000, v218
	v_add_co_ci_u32_e32 v15, vcc_lo, 0, v219, vcc_lo
	global_load_dwordx4 v[20:23], v[14:15], off offset:512
	global_load_dwordx4 v[8:11], v[12:13], off
	s_waitcnt vmcnt(0)
	v_mul_f64 v[16:17], v[10:11], v[22:23]
	v_mul_f64 v[18:19], v[8:9], v[22:23]
	v_fma_f64 v[8:9], v[8:9], v[20:21], v[16:17]
	v_add_co_u32 v16, vcc_lo, v12, s6
	v_add_co_ci_u32_e32 v17, vcc_lo, s7, v13, vcc_lo
	buffer_store_dword v20, off, s[60:63], 0 offset:116 ; 4-byte Folded Spill
	buffer_store_dword v21, off, s[60:63], 0 offset:120 ; 4-byte Folded Spill
	;; [unrolled: 1-line block ×4, first 2 shown]
	global_load_dwordx4 v[26:29], v[14:15], off offset:1600
	global_load_dwordx4 v[12:15], v[16:17], off
	v_fma_f64 v[10:11], v[10:11], v[20:21], -v[18:19]
	s_waitcnt vmcnt(0)
	v_mul_f64 v[18:19], v[14:15], v[28:29]
	v_mul_f64 v[20:21], v[12:13], v[28:29]
	v_fma_f64 v[12:13], v[12:13], v[26:27], v[18:19]
	buffer_store_dword v26, off, s[60:63], 0 offset:132 ; 4-byte Folded Spill
	buffer_store_dword v27, off, s[60:63], 0 offset:136 ; 4-byte Folded Spill
	;; [unrolled: 1-line block ×4, first 2 shown]
	v_fma_f64 v[14:15], v[14:15], v[26:27], -v[20:21]
	v_add_co_u32 v20, vcc_lo, v16, s6
	v_add_co_ci_u32_e32 v21, vcc_lo, s7, v17, vcc_lo
	v_add_co_u32 v22, vcc_lo, 0x2800, v218
	v_add_co_ci_u32_e32 v23, vcc_lo, 0, v219, vcc_lo
	global_load_dwordx4 v[30:33], v[22:23], off offset:640
	global_load_dwordx4 v[16:19], v[20:21], off
	s_waitcnt vmcnt(0)
	v_mul_f64 v[26:27], v[18:19], v[32:33]
	v_mul_f64 v[28:29], v[16:17], v[32:33]
	v_fma_f64 v[16:17], v[16:17], v[30:31], v[26:27]
	v_add_co_u32 v26, vcc_lo, v20, s6
	v_add_co_ci_u32_e32 v27, vcc_lo, s7, v21, vcc_lo
	buffer_store_dword v30, off, s[60:63], 0 offset:148 ; 4-byte Folded Spill
	buffer_store_dword v31, off, s[60:63], 0 offset:152 ; 4-byte Folded Spill
	;; [unrolled: 1-line block ×4, first 2 shown]
	global_load_dwordx4 v[32:35], v[22:23], off offset:1728
	global_load_dwordx4 v[20:23], v[26:27], off
	v_add_co_u32 v26, vcc_lo, v26, s6
	v_add_co_ci_u32_e32 v27, vcc_lo, s7, v27, vcc_lo
	v_add_co_u32 v220, vcc_lo, 0x3000, v218
	v_add_co_ci_u32_e32 v221, vcc_lo, 0, v219, vcc_lo
	s_mov_b32 s6, 0xb2365da1
	s_mov_b32 s7, 0xbfd6b1d8
	v_cmp_gt_u16_e32 vcc_lo, 17, v25
	v_fma_f64 v[18:19], v[18:19], v[30:31], -v[28:29]
	s_waitcnt vmcnt(0)
	v_mul_f64 v[28:29], v[22:23], v[34:35]
	v_mul_f64 v[30:31], v[20:21], v[34:35]
	v_fma_f64 v[20:21], v[20:21], v[32:33], v[28:29]
	buffer_store_dword v32, off, s[60:63], 0 offset:164 ; 4-byte Folded Spill
	buffer_store_dword v33, off, s[60:63], 0 offset:168 ; 4-byte Folded Spill
	;; [unrolled: 1-line block ×4, first 2 shown]
	global_load_dwordx4 v[26:29], v[26:27], off
	global_load_dwordx4 v[34:37], v[220:221], off offset:768
	v_fma_f64 v[22:23], v[22:23], v[32:33], -v[30:31]
	s_waitcnt vmcnt(0)
	v_mul_f64 v[30:31], v[28:29], v[36:37]
	v_mul_f64 v[32:33], v[26:27], v[36:37]
	v_fma_f64 v[26:27], v[26:27], v[34:35], v[30:31]
	buffer_store_dword v34, off, s[60:63], 0 offset:180 ; 4-byte Folded Spill
	buffer_store_dword v35, off, s[60:63], 0 offset:184 ; 4-byte Folded Spill
	;; [unrolled: 1-line block ×4, first 2 shown]
	v_mul_hi_u32 v30, 0xaaaaaaab, v235
	v_lshrrev_b32_e32 v30, 1, v30
	v_lshl_add_u32 v30, v30, 1, v30
	v_sub_nc_u32_e32 v30, v235, v30
	v_mul_u32_u24_e32 v30, 0x374, v30
	v_lshlrev_b32_e32 v120, 4, v30
	v_add_nc_u32_e32 v255, v24, v120
	ds_write_b128 v255, v[52:55]
	ds_write_b128 v255, v[56:59] offset:1088
	ds_write_b128 v255, v[60:63] offset:2176
	;; [unrolled: 1-line block ×11, first 2 shown]
	s_load_dwordx4 s[8:11], s[10:11], 0x0
	v_fma_f64 v[28:29], v[28:29], v[34:35], -v[32:33]
	ds_write_b128 v255, v[26:29] offset:13056
	s_waitcnt lgkmcnt(0)
	s_waitcnt_vscnt null, 0x0
	s_barrier
	buffer_gl0_inv
	ds_read_b128 v[52:55], v255
	ds_read_b128 v[56:59], v255 offset:1088
	ds_read_b128 v[0:3], v255 offset:2176
	buffer_store_dword v120, off, s[60:63], 0 ; 4-byte Folded Spill
	s_waitcnt lgkmcnt(1)
	v_add_f64 v[4:5], v[52:53], v[56:57]
	s_waitcnt lgkmcnt(0)
	v_add_f64 v[8:9], v[4:5], v[0:1]
	v_add_f64 v[4:5], v[54:55], v[58:59]
	;; [unrolled: 1-line block ×3, first 2 shown]
	ds_read_b128 v[4:7], v255 offset:3264
	s_waitcnt lgkmcnt(0)
	v_add_f64 v[12:13], v[8:9], v[4:5]
	v_add_f64 v[14:15], v[10:11], v[6:7]
	ds_read_b128 v[8:11], v255 offset:4352
	s_waitcnt lgkmcnt(0)
	v_add_f64 v[16:17], v[12:13], v[8:9]
	v_add_f64 v[18:19], v[14:15], v[10:11]
	;; [unrolled: 4-line block ×5, first 2 shown]
	v_add_f64 v[84:85], v[16:17], -v[20:21]
	v_add_f64 v[90:91], v[18:19], -v[22:23]
	v_add_f64 v[20:21], v[26:27], v[20:21]
	v_add_f64 v[22:23], v[28:29], v[22:23]
	ds_read_b128 v[16:19], v255 offset:8704
	s_waitcnt lgkmcnt(0)
	v_add_f64 v[76:77], v[12:13], v[16:17]
	v_add_f64 v[78:79], v[14:15], v[18:19]
	v_add_f64 v[96:97], v[12:13], -v[16:17]
	v_add_f64 v[98:99], v[14:15], -v[18:19]
	v_add_f64 v[16:17], v[20:21], v[16:17]
	v_add_f64 v[18:19], v[22:23], v[18:19]
	ds_read_b128 v[12:15], v255 offset:9792
	s_waitcnt lgkmcnt(0)
	v_add_f64 v[80:81], v[8:9], v[12:13]
	v_add_f64 v[82:83], v[10:11], v[14:15]
	;; [unrolled: 8-line block ×4, first 2 shown]
	v_add_f64 v[108:109], v[0:1], -v[4:5]
	v_add_f64 v[110:111], v[2:3], -v[6:7]
	v_add_f64 v[0:1], v[8:9], v[4:5]
	v_add_f64 v[2:3], v[10:11], v[6:7]
	ds_read_b128 v[4:7], v255 offset:13056
	s_waitcnt lgkmcnt(0)
	s_waitcnt_vscnt null, 0x0
	s_barrier
	buffer_gl0_inv
	v_add_f64 v[8:9], v[58:59], -v[6:7]
	v_add_f64 v[10:11], v[56:57], v[4:5]
	v_add_f64 v[12:13], v[58:59], v[6:7]
	v_add_f64 v[14:15], v[56:57], -v[4:5]
	v_add_f64 v[56:57], v[0:1], v[4:5]
	v_add_f64 v[58:59], v[2:3], v[6:7]
	v_mul_f64 v[4:5], v[8:9], s[30:31]
	v_mul_f64 v[6:7], v[8:9], s[18:19]
	;; [unrolled: 1-line block ×8, first 2 shown]
	v_fma_f64 v[22:23], v[10:11], s[0:1], -v[4:5]
	v_fma_f64 v[26:27], v[10:11], s[6:7], -v[6:7]
	;; [unrolled: 1-line block ×3, first 2 shown]
	v_fma_f64 v[0:1], v[10:11], s[14:15], v[0:1]
	v_fma_f64 v[20:21], v[10:11], s[12:13], -v[2:3]
	v_fma_f64 v[2:3], v[10:11], s[12:13], v[2:3]
	v_fma_f64 v[4:5], v[10:11], s[0:1], v[4:5]
	;; [unrolled: 1-line block ×3, first 2 shown]
	v_fma_f64 v[28:29], v[10:11], s[16:17], -v[16:17]
	v_fma_f64 v[30:31], v[10:11], s[16:17], v[16:17]
	v_fma_f64 v[32:33], v[10:11], s[24:25], -v[8:9]
	v_fma_f64 v[34:35], v[10:11], s[24:25], v[8:9]
	v_mul_f64 v[8:9], v[14:15], s[20:21]
	v_mul_f64 v[10:11], v[14:15], s[26:27]
	;; [unrolled: 1-line block ×4, first 2 shown]
	v_fma_f64 v[46:47], v[12:13], s[6:7], v[36:37]
	v_fma_f64 v[36:37], v[12:13], s[6:7], -v[36:37]
	v_fma_f64 v[48:49], v[12:13], s[16:17], v[38:39]
	v_fma_f64 v[38:39], v[12:13], s[16:17], -v[38:39]
	s_mov_b32 s21, 0x3fddbe06
	v_add_f64 v[114:115], v[52:53], v[22:23]
	v_add_f64 v[22:23], v[52:53], v[26:27]
	v_mul_f64 v[26:27], v[110:111], s[26:27]
	v_add_f64 v[62:63], v[52:53], v[18:19]
	v_add_f64 v[68:69], v[52:53], v[20:21]
	;; [unrolled: 1-line block ×8, first 2 shown]
	v_mul_f64 v[34:35], v[106:107], s[30:31]
	v_fma_f64 v[42:43], v[12:13], s[12:13], v[10:11]
	v_fma_f64 v[10:11], v[12:13], s[12:13], -v[10:11]
	v_fma_f64 v[44:45], v[12:13], s[0:1], v[16:17]
	v_fma_f64 v[16:17], v[12:13], s[0:1], -v[16:17]
	;; [unrolled: 2-line block ×3, first 2 shown]
	v_add_f64 v[14:15], v[52:53], v[28:29]
	v_fma_f64 v[40:41], v[12:13], s[14:15], v[8:9]
	v_fma_f64 v[8:9], v[12:13], s[14:15], -v[8:9]
	v_add_f64 v[20:21], v[54:55], v[46:47]
	v_add_f64 v[12:13], v[54:55], v[48:49]
	v_fma_f64 v[28:29], v[92:93], s[12:13], -v[26:27]
	v_fma_f64 v[26:27], v[92:93], s[12:13], v[26:27]
	v_add_f64 v[42:43], v[54:55], v[42:43]
	v_add_f64 v[112:113], v[54:55], v[10:11]
	;; [unrolled: 1-line block ×5, first 2 shown]
	v_mul_f64 v[30:31], v[108:109], s[26:27]
	v_fma_f64 v[36:37], v[86:87], s[0:1], -v[34:35]
	v_add_f64 v[40:41], v[54:55], v[40:41]
	v_add_f64 v[66:67], v[54:55], v[8:9]
	;; [unrolled: 1-line block ×8, first 2 shown]
	v_fma_f64 v[32:33], v[94:95], s[12:13], v[30:31]
	v_fma_f64 v[30:31], v[94:95], s[12:13], -v[30:31]
	v_add_f64 v[28:29], v[36:37], v[28:29]
	v_mul_f64 v[36:37], v[104:105], s[30:31]
	v_add_f64 v[32:33], v[32:33], v[40:41]
	v_add_f64 v[30:31], v[30:31], v[66:67]
	v_fma_f64 v[38:39], v[88:89], s[0:1], v[36:37]
	v_add_f64 v[32:33], v[38:39], v[32:33]
	v_mul_f64 v[38:39], v[102:103], s[18:19]
	v_fma_f64 v[40:41], v[80:81], s[6:7], -v[38:39]
	v_add_f64 v[28:29], v[40:41], v[28:29]
	v_mul_f64 v[40:41], v[100:101], s[18:19]
	v_fma_f64 v[46:47], v[82:83], s[6:7], v[40:41]
	v_add_f64 v[32:33], v[46:47], v[32:33]
	v_mul_f64 v[46:47], v[98:99], s[22:23]
	v_fma_f64 v[48:49], v[76:77], s[16:17], -v[46:47]
	v_add_f64 v[28:29], v[48:49], v[28:29]
	v_mul_f64 v[48:49], v[96:97], s[22:23]
	;; [unrolled: 6-line block ×3, first 2 shown]
	v_fma_f64 v[52:53], v[74:75], s[24:25], v[28:29]
	v_fma_f64 v[28:29], v[74:75], s[24:25], -v[28:29]
	v_add_f64 v[62:63], v[52:53], v[32:33]
	v_fma_f64 v[32:33], v[86:87], s[0:1], v[34:35]
	v_mul_f64 v[34:35], v[106:107], s[28:29]
	v_add_f64 v[26:27], v[32:33], v[26:27]
	v_fma_f64 v[32:33], v[88:89], s[0:1], -v[36:37]
	v_fma_f64 v[36:37], v[86:87], s[24:25], -v[34:35]
	v_add_f64 v[30:31], v[32:33], v[30:31]
	v_fma_f64 v[32:33], v[80:81], s[6:7], v[38:39]
	v_add_f64 v[26:27], v[32:33], v[26:27]
	v_fma_f64 v[32:33], v[82:83], s[6:7], -v[40:41]
	v_add_f64 v[30:31], v[32:33], v[30:31]
	v_fma_f64 v[32:33], v[76:77], s[16:17], v[46:47]
	v_add_f64 v[26:27], v[32:33], v[26:27]
	;; [unrolled: 4-line block ×3, first 2 shown]
	v_add_f64 v[52:53], v[32:33], v[26:27]
	v_mul_f64 v[26:27], v[110:111], s[18:19]
	v_mul_f64 v[30:31], v[108:109], s[18:19]
	v_fma_f64 v[28:29], v[92:93], s[6:7], -v[26:27]
	v_fma_f64 v[32:33], v[94:95], s[6:7], v[30:31]
	v_fma_f64 v[26:27], v[92:93], s[6:7], v[26:27]
	v_fma_f64 v[30:31], v[94:95], s[6:7], -v[30:31]
	v_add_f64 v[28:29], v[28:29], v[68:69]
	v_add_f64 v[32:33], v[32:33], v[42:43]
	;; [unrolled: 1-line block ×5, first 2 shown]
	v_mul_f64 v[36:37], v[104:105], s[28:29]
	v_fma_f64 v[38:39], v[88:89], s[24:25], v[36:37]
	v_add_f64 v[32:33], v[38:39], v[32:33]
	v_mul_f64 v[38:39], v[102:103], s[36:37]
	v_fma_f64 v[40:41], v[80:81], s[16:17], -v[38:39]
	v_add_f64 v[28:29], v[40:41], v[28:29]
	v_mul_f64 v[40:41], v[100:101], s[36:37]
	v_fma_f64 v[42:43], v[82:83], s[16:17], v[40:41]
	v_add_f64 v[32:33], v[42:43], v[32:33]
	v_mul_f64 v[42:43], v[98:99], s[34:35]
	v_fma_f64 v[46:47], v[76:77], s[0:1], -v[42:43]
	v_add_f64 v[28:29], v[46:47], v[28:29]
	;; [unrolled: 6-line block ×3, first 2 shown]
	v_mul_f64 v[28:29], v[84:85], s[20:21]
	v_fma_f64 v[50:51], v[74:75], s[14:15], v[28:29]
	v_fma_f64 v[28:29], v[74:75], s[14:15], -v[28:29]
	v_add_f64 v[66:67], v[50:51], v[32:33]
	v_fma_f64 v[32:33], v[86:87], s[24:25], v[34:35]
	v_mul_f64 v[34:35], v[106:107], s[38:39]
	v_add_f64 v[26:27], v[32:33], v[26:27]
	v_fma_f64 v[32:33], v[88:89], s[24:25], -v[36:37]
	v_fma_f64 v[36:37], v[86:87], s[6:7], -v[34:35]
	v_fma_f64 v[34:35], v[86:87], s[6:7], v[34:35]
	v_add_f64 v[30:31], v[32:33], v[30:31]
	v_fma_f64 v[32:33], v[80:81], s[16:17], v[38:39]
	v_add_f64 v[26:27], v[32:33], v[26:27]
	v_fma_f64 v[32:33], v[82:83], s[16:17], -v[40:41]
	v_add_f64 v[30:31], v[32:33], v[30:31]
	v_fma_f64 v[32:33], v[76:77], s[0:1], v[42:43]
	v_add_f64 v[26:27], v[32:33], v[26:27]
	v_fma_f64 v[32:33], v[78:79], s[0:1], -v[46:47]
	v_add_f64 v[30:31], v[32:33], v[30:31]
	v_fma_f64 v[32:33], v[72:73], s[14:15], v[48:49]
	v_add_f64 v[70:71], v[28:29], v[30:31]
	v_mul_f64 v[30:31], v[110:111], s[28:29]
	v_add_f64 v[68:69], v[32:33], v[26:27]
	v_mul_f64 v[32:33], v[108:109], s[28:29]
	s_mov_b32 s29, 0x3fea55e2
	v_fma_f64 v[26:27], v[92:93], s[24:25], -v[30:31]
	v_fma_f64 v[30:31], v[92:93], s[24:25], v[30:31]
	v_fma_f64 v[28:29], v[94:95], s[24:25], v[32:33]
	v_fma_f64 v[32:33], v[94:95], s[24:25], -v[32:33]
	v_add_f64 v[26:27], v[26:27], v[114:115]
	v_add_f64 v[30:31], v[30:31], v[116:117]
	;; [unrolled: 1-line block ×4, first 2 shown]
                                        ; implicit-def: $vgpr116_vgpr117
	v_add_f64 v[26:27], v[36:37], v[26:27]
	v_mul_f64 v[36:37], v[104:105], s[38:39]
	v_add_f64 v[30:31], v[34:35], v[30:31]
	v_fma_f64 v[38:39], v[88:89], s[6:7], v[36:37]
	v_fma_f64 v[34:35], v[88:89], s[6:7], -v[36:37]
	v_add_f64 v[28:29], v[38:39], v[28:29]
	v_mul_f64 v[38:39], v[102:103], s[20:21]
	v_add_f64 v[32:33], v[34:35], v[32:33]
	v_fma_f64 v[40:41], v[80:81], s[14:15], -v[38:39]
	v_fma_f64 v[34:35], v[80:81], s[14:15], v[38:39]
	v_add_f64 v[26:27], v[40:41], v[26:27]
	v_mul_f64 v[40:41], v[100:101], s[20:21]
	v_add_f64 v[30:31], v[34:35], v[30:31]
	v_fma_f64 v[42:43], v[82:83], s[14:15], v[40:41]
	v_fma_f64 v[34:35], v[82:83], s[14:15], -v[40:41]
	v_add_f64 v[28:29], v[42:43], v[28:29]
	v_mul_f64 v[42:43], v[98:99], s[26:27]
	v_add_f64 v[32:33], v[34:35], v[32:33]
	v_fma_f64 v[44:45], v[76:77], s[12:13], -v[42:43]
	v_fma_f64 v[34:35], v[76:77], s[12:13], v[42:43]
	;; [unrolled: 10-line block ×3, first 2 shown]
	v_add_f64 v[26:27], v[48:49], v[26:27]
	v_mul_f64 v[48:49], v[84:85], s[22:23]
	v_add_f64 v[30:31], v[34:35], v[30:31]
	v_mul_f64 v[34:35], v[110:111], s[36:37]
	v_fma_f64 v[36:37], v[74:75], s[16:17], -v[48:49]
	v_fma_f64 v[50:51], v[74:75], s[16:17], v[48:49]
	v_add_f64 v[32:33], v[36:37], v[32:33]
	v_fma_f64 v[36:37], v[92:93], s[16:17], -v[34:35]
	v_fma_f64 v[34:35], v[92:93], s[16:17], v[34:35]
	v_add_f64 v[28:29], v[50:51], v[28:29]
	v_add_f64 v[22:23], v[36:37], v[22:23]
	v_mul_f64 v[36:37], v[108:109], s[36:37]
	v_add_f64 v[18:19], v[34:35], v[18:19]
	v_fma_f64 v[38:39], v[94:95], s[16:17], v[36:37]
	v_fma_f64 v[34:35], v[94:95], s[16:17], -v[36:37]
	v_add_f64 v[20:21], v[38:39], v[20:21]
	v_mul_f64 v[38:39], v[106:107], s[20:21]
	v_add_f64 v[16:17], v[34:35], v[16:17]
	v_fma_f64 v[40:41], v[86:87], s[14:15], -v[38:39]
	v_fma_f64 v[34:35], v[86:87], s[14:15], v[38:39]
	v_add_f64 v[22:23], v[40:41], v[22:23]
	v_mul_f64 v[40:41], v[104:105], s[20:21]
	v_add_f64 v[18:19], v[34:35], v[18:19]
	v_fma_f64 v[42:43], v[88:89], s[14:15], v[40:41]
	v_fma_f64 v[34:35], v[88:89], s[14:15], -v[40:41]
	v_add_f64 v[20:21], v[42:43], v[20:21]
	v_mul_f64 v[42:43], v[102:103], s[30:31]
	v_add_f64 v[16:17], v[34:35], v[16:17]
	v_fma_f64 v[44:45], v[80:81], s[0:1], -v[42:43]
	v_fma_f64 v[34:35], v[80:81], s[0:1], v[42:43]
	v_add_f64 v[22:23], v[44:45], v[22:23]
	v_mul_f64 v[44:45], v[100:101], s[30:31]
	s_mov_b32 s31, 0x3fcea1e5
	s_mov_b32 s30, s28
	v_add_f64 v[18:19], v[34:35], v[18:19]
	s_mov_b32 s28, s26
	v_mul_f64 v[112:113], v[90:91], s[28:29]
	v_mul_f64 v[114:115], v[84:85], s[28:29]
	v_fma_f64 v[46:47], v[82:83], s[0:1], v[44:45]
	v_fma_f64 v[34:35], v[82:83], s[0:1], -v[44:45]
	v_fma_f64 v[36:37], v[74:75], s[12:13], -v[114:115]
	v_add_f64 v[20:21], v[46:47], v[20:21]
	v_mul_f64 v[46:47], v[98:99], s[30:31]
	v_add_f64 v[16:17], v[34:35], v[16:17]
	v_fma_f64 v[48:49], v[76:77], s[24:25], -v[46:47]
	v_fma_f64 v[34:35], v[76:77], s[24:25], v[46:47]
	v_add_f64 v[22:23], v[48:49], v[22:23]
	v_mul_f64 v[48:49], v[96:97], s[30:31]
	v_add_f64 v[18:19], v[34:35], v[18:19]
	v_fma_f64 v[34:35], v[78:79], s[24:25], -v[48:49]
	v_fma_f64 v[50:51], v[78:79], s[24:25], v[48:49]
	v_add_f64 v[34:35], v[34:35], v[16:17]
	v_fma_f64 v[16:17], v[72:73], s[12:13], v[112:113]
	v_add_f64 v[50:51], v[50:51], v[20:21]
	v_fma_f64 v[20:21], v[72:73], s[12:13], -v[112:113]
	v_mul_f64 v[112:113], v[90:91], s[18:19]
	v_mul_f64 v[90:91], v[90:91], s[34:35]
	v_add_f64 v[16:17], v[16:17], v[18:19]
	v_add_f64 v[18:19], v[36:37], v[34:35]
	v_mul_f64 v[34:35], v[110:111], s[34:35]
	v_add_f64 v[20:21], v[20:21], v[22:23]
	v_fma_f64 v[22:23], v[74:75], s[12:13], v[114:115]
	v_mul_f64 v[114:115], v[84:85], s[18:19]
	v_mul_f64 v[84:85], v[84:85], s[34:35]
	v_fma_f64 v[36:37], v[92:93], s[0:1], -v[34:35]
	v_fma_f64 v[34:35], v[92:93], s[0:1], v[34:35]
	v_add_f64 v[22:23], v[22:23], v[50:51]
	v_add_f64 v[14:15], v[36:37], v[14:15]
	v_mul_f64 v[36:37], v[108:109], s[34:35]
	v_add_f64 v[10:11], v[34:35], v[10:11]
	v_fma_f64 v[38:39], v[94:95], s[0:1], v[36:37]
	v_fma_f64 v[34:35], v[94:95], s[0:1], -v[36:37]
	v_fma_f64 v[36:37], v[74:75], s[6:7], -v[114:115]
	v_add_f64 v[12:13], v[38:39], v[12:13]
	v_mul_f64 v[38:39], v[106:107], s[26:27]
	v_add_f64 v[8:9], v[34:35], v[8:9]
	v_fma_f64 v[40:41], v[86:87], s[12:13], -v[38:39]
	v_fma_f64 v[34:35], v[86:87], s[12:13], v[38:39]
	v_add_f64 v[14:15], v[40:41], v[14:15]
	v_mul_f64 v[40:41], v[104:105], s[26:27]
	v_add_f64 v[10:11], v[34:35], v[10:11]
	v_fma_f64 v[42:43], v[88:89], s[12:13], v[40:41]
	v_fma_f64 v[34:35], v[88:89], s[12:13], -v[40:41]
	v_add_f64 v[12:13], v[42:43], v[12:13]
	v_mul_f64 v[42:43], v[102:103], s[30:31]
	v_add_f64 v[8:9], v[34:35], v[8:9]
	v_fma_f64 v[44:45], v[80:81], s[24:25], -v[42:43]
	v_fma_f64 v[34:35], v[80:81], s[24:25], v[42:43]
	v_add_f64 v[14:15], v[44:45], v[14:15]
	v_mul_f64 v[44:45], v[100:101], s[30:31]
	v_add_f64 v[10:11], v[34:35], v[10:11]
	v_fma_f64 v[46:47], v[82:83], s[24:25], v[44:45]
	v_fma_f64 v[34:35], v[82:83], s[24:25], -v[44:45]
	v_add_f64 v[12:13], v[46:47], v[12:13]
	v_mul_f64 v[46:47], v[98:99], s[20:21]
	v_add_f64 v[8:9], v[34:35], v[8:9]
	v_fma_f64 v[48:49], v[76:77], s[14:15], -v[46:47]
	v_fma_f64 v[34:35], v[76:77], s[14:15], v[46:47]
	v_add_f64 v[14:15], v[48:49], v[14:15]
	v_mul_f64 v[48:49], v[96:97], s[20:21]
	v_add_f64 v[10:11], v[34:35], v[10:11]
	v_fma_f64 v[34:35], v[78:79], s[14:15], -v[48:49]
	v_fma_f64 v[50:51], v[78:79], s[14:15], v[48:49]
	v_add_f64 v[34:35], v[34:35], v[8:9]
	v_fma_f64 v[8:9], v[72:73], s[6:7], v[112:113]
	v_add_f64 v[50:51], v[50:51], v[12:13]
	v_fma_f64 v[12:13], v[72:73], s[6:7], -v[112:113]
	v_add_f64 v[8:9], v[8:9], v[10:11]
	v_add_f64 v[10:11], v[36:37], v[34:35]
	v_mul_f64 v[34:35], v[110:111], s[20:21]
	v_add_f64 v[12:13], v[12:13], v[14:15]
	v_fma_f64 v[14:15], v[74:75], s[6:7], v[114:115]
	v_fma_f64 v[36:37], v[92:93], s[14:15], -v[34:35]
	v_fma_f64 v[34:35], v[92:93], s[14:15], v[34:35]
	v_add_f64 v[14:15], v[14:15], v[50:51]
	v_add_f64 v[6:7], v[36:37], v[6:7]
	v_mul_f64 v[36:37], v[108:109], s[20:21]
	v_add_f64 v[2:3], v[34:35], v[2:3]
                                        ; implicit-def: $vgpr108_vgpr109
	v_fma_f64 v[38:39], v[94:95], s[14:15], v[36:37]
	v_fma_f64 v[36:37], v[94:95], s[14:15], -v[36:37]
	v_add_f64 v[4:5], v[38:39], v[4:5]
	v_mul_f64 v[38:39], v[106:107], s[22:23]
	v_add_f64 v[0:1], v[36:37], v[0:1]
	v_fma_f64 v[40:41], v[86:87], s[16:17], -v[38:39]
	v_fma_f64 v[38:39], v[86:87], s[16:17], v[38:39]
	v_add_f64 v[6:7], v[40:41], v[6:7]
	v_mul_f64 v[40:41], v[104:105], s[22:23]
	v_add_f64 v[2:3], v[38:39], v[2:3]
                                        ; implicit-def: $vgpr104_vgpr105
	v_fma_f64 v[42:43], v[88:89], s[16:17], v[40:41]
	v_fma_f64 v[40:41], v[88:89], s[16:17], -v[40:41]
	v_add_f64 v[4:5], v[42:43], v[4:5]
	v_mul_f64 v[42:43], v[102:103], s[28:29]
	v_add_f64 v[0:1], v[40:41], v[0:1]
	v_fma_f64 v[44:45], v[80:81], s[12:13], -v[42:43]
	v_fma_f64 v[34:35], v[80:81], s[12:13], v[42:43]
	v_add_f64 v[6:7], v[44:45], v[6:7]
	v_mul_f64 v[44:45], v[100:101], s[28:29]
	v_add_f64 v[2:3], v[34:35], v[2:3]
	v_fma_f64 v[34:35], v[72:73], s[0:1], v[90:91]
	v_fma_f64 v[46:47], v[82:83], s[12:13], v[44:45]
	v_fma_f64 v[36:37], v[82:83], s[12:13], -v[44:45]
	v_add_f64 v[4:5], v[46:47], v[4:5]
	v_mul_f64 v[46:47], v[98:99], s[18:19]
	v_add_f64 v[0:1], v[36:37], v[0:1]
	v_fma_f64 v[36:37], v[74:75], s[0:1], -v[84:85]
	v_fma_f64 v[48:49], v[76:77], s[6:7], -v[46:47]
	v_fma_f64 v[38:39], v[76:77], s[6:7], v[46:47]
	v_add_f64 v[6:7], v[48:49], v[6:7]
	v_mul_f64 v[48:49], v[96:97], s[18:19]
	v_add_f64 v[2:3], v[38:39], v[2:3]
	v_fma_f64 v[50:51], v[78:79], s[6:7], v[48:49]
	v_fma_f64 v[40:41], v[78:79], s[6:7], -v[48:49]
	v_add_f64 v[50:51], v[50:51], v[4:5]
	v_fma_f64 v[4:5], v[72:73], s[0:1], -v[90:91]
	v_add_f64 v[38:39], v[40:41], v[0:1]
	v_add_f64 v[0:1], v[34:35], v[2:3]
	v_mul_lo_u16 v34, v25, 13
	v_and_b32_e32 v34, 0xffff, v34
	v_lshl_add_u32 v232, v34, 4, v120
	v_add_f64 v[4:5], v[4:5], v[6:7]
	v_fma_f64 v[6:7], v[74:75], s[0:1], v[84:85]
	v_add_f64 v[2:3], v[36:37], v[38:39]
	v_add_f64 v[6:7], v[6:7], v[50:51]
	ds_write_b128 v232, v[60:63] offset:16
	ds_write_b128 v232, v[64:67] offset:32
	;; [unrolled: 1-line block ×11, first 2 shown]
	ds_write_b128 v232, v[56:59]
	ds_write_b128 v232, v[52:55] offset:192
	s_waitcnt lgkmcnt(0)
	s_barrier
	buffer_gl0_inv
	ds_read_b128 v[56:59], v255
	ds_read_b128 v[84:87], v255 offset:3536
	ds_read_b128 v[72:75], v255 offset:7072
	;; [unrolled: 1-line block ×11, first 2 shown]
	s_and_saveexec_b32 s0, vcc_lo
	s_cbranch_execz .LBB0_3
; %bb.2:
	ds_read_b128 v[52:55], v255 offset:3264
	ds_read_b128 v[104:107], v255 offset:6800
	;; [unrolled: 1-line block ×4, first 2 shown]
.LBB0_3:
	s_or_b32 exec_lo, exec_lo, s0
	v_and_b32_e32 v0, 0xff, v236
	v_add_nc_u16 v1, v236, 0xcc
	v_mov_b32_e32 v2, 0x4ec5
	v_add_nc_u16 v3, v236, 0x44
	v_add_nc_u16 v4, v236, 0x88
	v_mul_lo_u16 v0, 0x4f, v0
	v_mul_u32_u24_sdwa v2, v1, v2 dst_sel:DWORD dst_unused:UNUSED_PAD src0_sel:WORD_0 src1_sel:DWORD
	v_and_b32_e32 v5, 0xff, v3
	v_lshrrev_b16 v164, 10, v0
	v_and_b32_e32 v0, 0xff, v4
	v_lshrrev_b32_e32 v6, 18, v2
	v_mul_lo_u16 v2, 0x4f, v5
	v_mul_lo_u16 v5, v164, 13
	;; [unrolled: 1-line block ×3, first 2 shown]
	buffer_store_dword v6, off, s[60:63], 0 offset:196 ; 4-byte Folded Spill
	v_mul_lo_u16 v6, v6, 13
	v_lshrrev_b16 v165, 10, v2
	v_sub_nc_u16 v2, v236, v5
	v_lshrrev_b16 v166, 10, v0
	v_sub_nc_u16 v1, v1, v6
	v_mul_lo_u16 v0, v165, 13
	v_and_b32_e32 v167, 0xff, v2
	v_mul_lo_u16 v5, v166, 13
	v_mul_lo_u16 v2, v1, 48
	v_sub_nc_u16 v3, v3, v0
	buffer_store_dword v1, off, s[60:63], 0 offset:200 ; 4-byte Folded Spill
	v_sub_nc_u16 v6, v4, v5
	v_mad_u64_u32 v[0:1], null, v167, 48, s[2:3]
	v_and_b32_e32 v2, 0xffff, v2
	v_and_b32_e32 v168, 0xff, v3
	;; [unrolled: 1-line block ×3, first 2 shown]
	s_clause 0x1
	global_load_dwordx4 v[156:159], v[0:1], off offset:16
	global_load_dwordx4 v[160:163], v[0:1], off
	v_add_co_u32 v2, s0, s2, v2
	v_add_co_ci_u32_e64 v3, null, s3, 0, s0
	v_mad_u64_u32 v[4:5], null, v168, 48, s[2:3]
	s_clause 0x2
	global_load_dwordx4 v[148:151], v[0:1], off offset:32
	global_load_dwordx4 v[112:115], v[2:3], off offset:32
	;; [unrolled: 1-line block ×3, first 2 shown]
	v_mad_u64_u32 v[0:1], null, v212, 48, s[2:3]
	s_clause 0x6
	global_load_dwordx4 v[152:155], v[4:5], off
	global_load_dwordx4 v[144:147], v[4:5], off offset:16
	global_load_dwordx4 v[140:143], v[4:5], off offset:32
	global_load_dwordx4 v[136:139], v[0:1], off
	global_load_dwordx4 v[132:135], v[0:1], off offset:16
	global_load_dwordx4 v[128:131], v[0:1], off offset:32
	global_load_dwordx4 v[124:127], v[2:3], off
	s_waitcnt vmcnt(11) lgkmcnt(9)
	v_mul_f64 v[4:5], v[74:75], v[158:159]
	s_waitcnt vmcnt(10)
	v_mul_f64 v[0:1], v[86:87], v[162:163]
	v_mul_f64 v[2:3], v[84:85], v[162:163]
	;; [unrolled: 1-line block ×3, first 2 shown]
	s_waitcnt vmcnt(9) lgkmcnt(8)
	v_mul_f64 v[8:9], v[70:71], v[150:151]
	v_mul_f64 v[10:11], v[68:69], v[150:151]
	s_waitcnt vmcnt(6) lgkmcnt(6)
	v_mul_f64 v[22:23], v[76:77], v[154:155]
	v_mul_f64 v[20:21], v[78:79], v[154:155]
	s_waitcnt lgkmcnt(1)
	v_mul_f64 v[12:13], v[118:119], v[122:123]
	v_mul_f64 v[14:15], v[116:117], v[122:123]
	s_waitcnt lgkmcnt(0)
	v_mul_f64 v[16:17], v[110:111], v[114:115]
	v_mul_f64 v[18:19], v[108:109], v[114:115]
	s_waitcnt vmcnt(5)
	v_mul_f64 v[25:26], v[90:91], v[146:147]
	v_mul_f64 v[27:28], v[88:89], v[146:147]
	s_waitcnt vmcnt(4)
	;; [unrolled: 3-line block ×6, first 2 shown]
	v_mul_f64 v[45:46], v[106:107], v[126:127]
	v_mul_f64 v[47:48], v[104:105], v[126:127]
	v_fma_f64 v[0:1], v[84:85], v[160:161], -v[0:1]
	v_fma_f64 v[2:3], v[86:87], v[160:161], v[2:3]
	v_fma_f64 v[4:5], v[72:73], v[156:157], -v[4:5]
	v_fma_f64 v[6:7], v[74:75], v[156:157], v[6:7]
	v_fma_f64 v[22:23], v[78:79], v[152:153], v[22:23]
	buffer_load_dword v78, off, s[60:63], 0 ; 4-byte Folded Reload
	v_fma_f64 v[8:9], v[68:69], v[148:149], -v[8:9]
	v_fma_f64 v[10:11], v[70:71], v[148:149], v[10:11]
	v_fma_f64 v[12:13], v[116:117], v[120:121], -v[12:13]
	v_fma_f64 v[14:15], v[118:119], v[120:121], v[14:15]
	v_fma_f64 v[20:21], v[76:77], v[152:153], -v[20:21]
	v_fma_f64 v[25:26], v[88:89], v[144:145], -v[25:26]
	v_fma_f64 v[27:28], v[90:91], v[144:145], v[27:28]
	v_fma_f64 v[29:30], v[80:81], v[140:141], -v[29:30]
	v_fma_f64 v[31:32], v[82:83], v[140:141], v[31:32]
	;; [unrolled: 2-line block ×7, first 2 shown]
	v_add_f64 v[4:5], v[56:57], -v[4:5]
	v_add_f64 v[6:7], v[58:59], -v[6:7]
	s_waitcnt vmcnt(0)
	s_waitcnt_vscnt null, 0x0
	v_add_f64 v[8:9], v[0:1], -v[8:9]
	v_add_f64 v[10:11], v[2:3], -v[10:11]
	;; [unrolled: 1-line block ×4, first 2 shown]
	s_barrier
	v_add_f64 v[25:26], v[60:61], -v[25:26]
	v_add_f64 v[27:28], v[62:63], -v[27:28]
	;; [unrolled: 1-line block ×4, first 2 shown]
	buffer_gl0_inv
	v_add_f64 v[37:38], v[64:65], -v[37:38]
	v_add_f64 v[39:40], v[66:67], -v[39:40]
	v_add_f64 v[41:42], v[33:34], -v[41:42]
	v_add_f64 v[43:44], v[35:36], -v[43:44]
	v_add_f64 v[16:17], v[45:46], -v[16:17]
	v_add_f64 v[18:19], v[47:48], -v[18:19]
	v_fma_f64 v[49:50], v[56:57], 2.0, -v[4:5]
	v_fma_f64 v[56:57], v[58:59], 2.0, -v[6:7]
	;; [unrolled: 1-line block ×6, first 2 shown]
	v_add_f64 v[188:189], v[4:5], -v[10:11]
	v_fma_f64 v[58:59], v[60:61], 2.0, -v[25:26]
	v_fma_f64 v[60:61], v[62:63], 2.0, -v[27:28]
	;; [unrolled: 1-line block ×4, first 2 shown]
	v_add_f64 v[190:191], v[6:7], v[8:9]
	v_add_f64 v[108:109], v[25:26], -v[31:32]
	v_fma_f64 v[62:63], v[64:65], 2.0, -v[37:38]
	v_fma_f64 v[64:65], v[66:67], 2.0, -v[39:40]
	;; [unrolled: 1-line block ×4, first 2 shown]
	v_add_f64 v[110:111], v[27:28], v[29:30]
	v_add_f64 v[104:105], v[37:38], -v[43:44]
	v_fma_f64 v[45:46], v[45:46], 2.0, -v[16:17]
	v_fma_f64 v[47:48], v[47:48], 2.0, -v[18:19]
	v_add_f64 v[106:107], v[39:40], v[41:42]
	v_add_f64 v[208:209], v[12:13], -v[18:19]
	v_add_f64 v[210:211], v[14:15], v[16:17]
	v_add_f64 v[192:193], v[49:50], -v[0:1]
	v_add_f64 v[194:195], v[56:57], -v[2:3]
	v_mov_b32_e32 v55, 52
	v_fma_f64 v[200:201], v[4:5], 2.0, -v[188:189]
	v_add_f64 v[100:101], v[58:59], -v[20:21]
	v_add_f64 v[102:103], v[60:61], -v[22:23]
	v_mul_u32_u24_sdwa v66, v164, v55 dst_sel:DWORD dst_unused:UNUSED_PAD src0_sel:WORD_0 src1_sel:DWORD
	v_mul_u32_u24_sdwa v0, v165, v55 dst_sel:DWORD dst_unused:UNUSED_PAD src0_sel:WORD_0 src1_sel:DWORD
	;; [unrolled: 1-line block ×3, first 2 shown]
	v_fma_f64 v[202:203], v[6:7], 2.0, -v[190:191]
	v_add_f64 v[172:173], v[62:63], -v[33:34]
	v_add_f64 v[174:175], v[64:65], -v[35:36]
	v_add_nc_u32_e32 v2, v66, v167
	v_add_nc_u32_e32 v0, v0, v168
	v_add_f64 v[204:205], v[51:52], -v[45:46]
	v_add_f64 v[206:207], v[53:54], -v[47:48]
	v_fma_f64 v[116:117], v[25:26], 2.0, -v[108:109]
	v_fma_f64 v[118:119], v[27:28], 2.0, -v[110:111]
	;; [unrolled: 1-line block ×8, first 2 shown]
	v_add_nc_u32_e32 v1, v1, v212
	v_fma_f64 v[184:185], v[58:59], 2.0, -v[100:101]
	v_fma_f64 v[186:187], v[60:61], 2.0, -v[102:103]
	;; [unrolled: 1-line block ×6, first 2 shown]
	v_lshl_add_u32 v83, v2, 4, v78
	v_lshl_add_u32 v82, v0, 4, v78
	;; [unrolled: 1-line block ×3, first 2 shown]
	ds_write_b128 v83, v[188:191] offset:624
	ds_write_b128 v83, v[200:203] offset:208
	;; [unrolled: 1-line block ×3, first 2 shown]
	ds_write_b128 v83, v[180:183]
	ds_write_b128 v82, v[116:119] offset:208
	ds_write_b128 v82, v[100:103] offset:416
	;; [unrolled: 1-line block ×3, first 2 shown]
	ds_write_b128 v82, v[184:187]
	ds_write_b128 v79, v[168:171]
	ds_write_b128 v79, v[164:167] offset:208
	ds_write_b128 v79, v[172:175] offset:416
	;; [unrolled: 1-line block ×3, first 2 shown]
	s_and_saveexec_b32 s0, vcc_lo
	s_cbranch_execz .LBB0_5
; %bb.4:
	s_clause 0x1
	buffer_load_dword v0, off, s[60:63], 0 offset:196
	buffer_load_dword v1, off, s[60:63], 0 offset:200
	s_waitcnt vmcnt(0)
	v_mad_u16 v0, v0, 52, v1
	v_and_b32_e32 v0, 0xffff, v0
	v_lshl_add_u32 v0, v0, 4, v78
	ds_write_b128 v0, v[176:179]
	ds_write_b128 v0, v[196:199] offset:208
	ds_write_b128 v0, v[204:207] offset:416
	;; [unrolled: 1-line block ×3, first 2 shown]
.LBB0_5:
	s_or_b32 exec_lo, exec_lo, s0
	v_cmp_gt_u16_e64 s0, 52, v236
	s_waitcnt lgkmcnt(0)
	s_barrier
	buffer_gl0_inv
                                        ; implicit-def: $vgpr212_vgpr213
	s_and_saveexec_b32 s1, s0
	s_cbranch_execz .LBB0_7
; %bb.6:
	ds_read_b128 v[180:183], v255
	ds_read_b128 v[200:203], v255 offset:832
	ds_read_b128 v[192:195], v255 offset:1664
	;; [unrolled: 1-line block ×16, first 2 shown]
.LBB0_7:
	s_or_b32 exec_lo, exec_lo, s1
	v_add_co_u32 v0, s1, 0xfffffcc0, v24
	v_add_co_ci_u32_e64 v1, null, 0, -1, s1
	s_mov_b32 s40, 0x2a9d6da3
	v_cndmask_b32_e64 v0, v0, v24, s0
	s_mov_b32 s41, 0xbfe58eea
	v_cndmask_b32_e64 v1, v1, 0, s0
	s_mov_b32 s16, 0x5d8e7cdc
	s_mov_b32 s17, 0xbfd71e95
	;; [unrolled: 1-line block ×4, first 2 shown]
	v_lshlrev_b64 v[0:1], 4, v[0:1]
	s_mov_b32 s14, 0x75d4884
	s_mov_b32 s15, 0x3fe7a5f6
	;; [unrolled: 1-line block ×5, first 2 shown]
	v_add_co_u32 v0, s1, s2, v0
	v_add_co_ci_u32_e64 v1, s1, s3, v1, s1
	s_mov_b32 s2, 0x2b2883cd
	s_mov_b32 s3, 0x3fdc86fa
	;; [unrolled: 1-line block ×3, first 2 shown]
	s_clause 0xb
	global_load_dwordx4 v[247:250], v[0:1], off offset:624
	global_load_dwordx4 v[90:93], v[0:1], off offset:864
	global_load_dwordx4 v[44:47], v[0:1], off offset:640
	global_load_dwordx4 v[40:43], v[0:1], off offset:848
	global_load_dwordx4 v[36:39], v[0:1], off offset:656
	global_load_dwordx4 v[32:35], v[0:1], off offset:832
	global_load_dwordx4 v[28:31], v[0:1], off offset:672
	global_load_dwordx4 v[24:27], v[0:1], off offset:816
	global_load_dwordx4 v[20:23], v[0:1], off offset:688
	global_load_dwordx4 v[16:19], v[0:1], off offset:800
	global_load_dwordx4 v[12:15], v[0:1], off offset:704
	global_load_dwordx4 v[8:11], v[0:1], off offset:784
	s_mov_b32 s18, 0x3259b75e
	s_mov_b32 s19, 0x3fb79ee6
	;; [unrolled: 1-line block ×32, first 2 shown]
	s_waitcnt vmcnt(11) lgkmcnt(15)
	v_mul_f64 v[2:3], v[202:203], v[249:250]
	v_mul_f64 v[4:5], v[200:201], v[249:250]
	s_waitcnt vmcnt(10) lgkmcnt(0)
	v_mul_f64 v[6:7], v[212:213], v[92:93]
	v_fma_f64 v[230:231], v[200:201], v[247:248], -v[2:3]
	v_fma_f64 v[233:234], v[202:203], v[247:248], v[4:5]
	v_mul_f64 v[2:3], v[214:215], v[92:93]
	s_waitcnt vmcnt(9)
	v_mul_f64 v[4:5], v[194:195], v[46:47]
	v_fma_f64 v[66:67], v[214:215], v[90:91], v[6:7]
	s_waitcnt vmcnt(8)
	v_mul_f64 v[6:7], v[208:209], v[42:43]
	v_fma_f64 v[68:69], v[212:213], v[90:91], -v[2:3]
	v_mul_f64 v[2:3], v[192:193], v[46:47]
	v_fma_f64 v[222:223], v[192:193], v[44:45], -v[4:5]
	buffer_store_dword v44, off, s[60:63], 0 offset:348 ; 4-byte Folded Spill
	buffer_store_dword v45, off, s[60:63], 0 offset:352 ; 4-byte Folded Spill
	buffer_store_dword v46, off, s[60:63], 0 offset:356 ; 4-byte Folded Spill
	buffer_store_dword v47, off, s[60:63], 0 offset:360 ; 4-byte Folded Spill
	v_fma_f64 v[46:47], v[210:211], v[40:41], v[6:7]
	s_waitcnt vmcnt(7)
	v_mul_f64 v[4:5], v[190:191], v[38:39]
	s_waitcnt vmcnt(6)
	v_mul_f64 v[6:7], v[206:207], v[34:35]
	v_add_f64 v[212:213], v[230:231], -v[68:69]
	v_fma_f64 v[226:227], v[188:189], v[36:37], -v[4:5]
	v_fma_f64 v[76:77], v[204:205], v[32:33], -v[6:7]
	s_waitcnt vmcnt(5)
	v_mul_f64 v[4:5], v[186:187], v[30:31]
	s_waitcnt vmcnt(4)
	v_mul_f64 v[6:7], v[198:199], v[26:27]
	v_mul_f64 v[50:51], v[212:213], s[16:17]
	v_add_f64 v[253:254], v[226:227], v[76:77]
	v_add_f64 v[52:53], v[226:227], -v[76:77]
	v_fma_f64 v[94:95], v[196:197], v[24:25], -v[6:7]
	s_waitcnt vmcnt(2)
	v_mul_f64 v[6:7], v[178:179], v[18:19]
	v_mul_f64 v[216:217], v[52:53], s[22:23]
	v_fma_f64 v[224:225], v[194:195], v[44:45], v[2:3]
	v_mul_f64 v[2:3], v[210:211], v[42:43]
	buffer_store_dword v40, off, s[60:63], 0 offset:332 ; 4-byte Folded Spill
	buffer_store_dword v41, off, s[60:63], 0 offset:336 ; 4-byte Folded Spill
	;; [unrolled: 1-line block ×4, first 2 shown]
	v_add_f64 v[251:252], v[224:225], -v[46:47]
	v_fma_f64 v[44:45], v[208:209], v[40:41], -v[2:3]
	v_mul_f64 v[2:3], v[188:189], v[38:39]
	buffer_store_dword v36, off, s[60:63], 0 offset:316 ; 4-byte Folded Spill
	buffer_store_dword v37, off, s[60:63], 0 offset:320 ; 4-byte Folded Spill
	;; [unrolled: 1-line block ×4, first 2 shown]
	v_mul_f64 v[188:189], v[52:53], s[6:7]
	v_mul_f64 v[208:209], v[212:213], s[40:41]
	v_fma_f64 v[228:229], v[190:191], v[36:37], v[2:3]
	v_mul_f64 v[2:3], v[204:205], v[34:35]
	buffer_store_dword v32, off, s[60:63], 0 offset:300 ; 4-byte Folded Spill
	buffer_store_dword v33, off, s[60:63], 0 offset:304 ; 4-byte Folded Spill
	;; [unrolled: 1-line block ×4, first 2 shown]
	v_fma_f64 v[86:87], v[206:207], v[32:33], v[2:3]
	v_mul_f64 v[2:3], v[184:185], v[30:31]
	v_fma_f64 v[32:33], v[184:185], v[28:29], -v[4:5]
	buffer_store_dword v28, off, s[60:63], 0 offset:284 ; 4-byte Folded Spill
	buffer_store_dword v29, off, s[60:63], 0 offset:288 ; 4-byte Folded Spill
	;; [unrolled: 1-line block ×4, first 2 shown]
	v_mul_f64 v[4:5], v[118:119], v[22:23]
	v_add_f64 v[184:185], v[230:231], v[68:69]
	v_add_f64 v[54:55], v[228:229], -v[86:87]
	v_add_f64 v[245:246], v[32:33], v[94:95]
	v_add_f64 v[70:71], v[32:33], -v[94:95]
	v_mul_f64 v[214:215], v[70:71], s[46:47]
	v_fma_f64 v[40:41], v[186:187], v[28:29], v[2:3]
	v_mul_f64 v[2:3], v[196:197], v[26:27]
	buffer_store_dword v24, off, s[60:63], 0 offset:268 ; 4-byte Folded Spill
	buffer_store_dword v25, off, s[60:63], 0 offset:272 ; 4-byte Folded Spill
	;; [unrolled: 1-line block ×4, first 2 shown]
	v_fma_f64 v[26:27], v[116:117], v[20:21], -v[4:5]
	s_waitcnt vmcnt(1)
	v_mul_f64 v[4:5], v[102:103], v[14:15]
	v_add_f64 v[186:187], v[233:234], -v[66:67]
	v_add_f64 v[28:29], v[224:225], v[46:47]
	v_fma_f64 v[34:35], v[100:101], v[12:13], -v[4:5]
	v_mul_f64 v[98:99], v[186:187], s[16:17]
	v_mul_f64 v[206:207], v[186:187], s[40:41]
	;; [unrolled: 1-line block ×3, first 2 shown]
	v_fma_f64 v[196:197], v[198:199], v[24:25], v[2:3]
	v_mul_f64 v[2:3], v[116:117], v[22:23]
	buffer_store_dword v20, off, s[60:63], 0 offset:252 ; 4-byte Folded Spill
	buffer_store_dword v21, off, s[60:63], 0 offset:256 ; 4-byte Folded Spill
	;; [unrolled: 1-line block ×4, first 2 shown]
	v_fma_f64 v[198:199], v[176:177], v[16:17], -v[6:7]
	s_waitcnt vmcnt(0)
	v_mul_f64 v[6:7], v[106:107], v[10:11]
	v_add_f64 v[56:57], v[40:41], -v[196:197]
	v_add_f64 v[48:49], v[40:41], v[196:197]
	v_mul_f64 v[116:117], v[56:57], s[46:47]
	v_fma_f64 v[30:31], v[118:119], v[20:21], v[2:3]
	v_mul_f64 v[2:3], v[176:177], v[18:19]
	buffer_store_dword v16, off, s[60:63], 0 offset:236 ; 4-byte Folded Spill
	buffer_store_dword v17, off, s[60:63], 0 offset:240 ; 4-byte Folded Spill
	;; [unrolled: 1-line block ×4, first 2 shown]
	v_add_f64 v[20:21], v[26:27], v[198:199]
	v_fma_f64 v[18:19], v[178:179], v[16:17], v[2:3]
	v_mul_f64 v[2:3], v[100:101], v[14:15]
	buffer_store_dword v12, off, s[60:63], 0 offset:220 ; 4-byte Folded Spill
	buffer_store_dword v13, off, s[60:63], 0 offset:224 ; 4-byte Folded Spill
	;; [unrolled: 1-line block ×4, first 2 shown]
	v_fma_f64 v[16:17], v[104:105], v[8:9], -v[6:7]
	v_mul_f64 v[100:101], v[251:252], s[40:41]
	v_add_f64 v[24:25], v[30:31], -v[18:19]
	v_add_f64 v[42:43], v[34:35], v[16:17]
	v_mul_f64 v[241:242], v[24:25], s[24:25]
	v_fma_f64 v[38:39], v[102:103], v[12:13], v[2:3]
	v_mul_f64 v[2:3], v[104:105], v[10:11]
	buffer_store_dword v8, off, s[60:63], 0 offset:204 ; 4-byte Folded Spill
	buffer_store_dword v9, off, s[60:63], 0 offset:208 ; 4-byte Folded Spill
	;; [unrolled: 1-line block ×4, first 2 shown]
	v_fma_f64 v[22:23], v[106:107], v[8:9], v[2:3]
	s_clause 0x1
	global_load_dwordx4 v[8:11], v[0:1], off offset:720
	global_load_dwordx4 v[4:7], v[0:1], off offset:736
	v_add_f64 v[88:89], v[38:39], -v[22:23]
	s_waitcnt vmcnt(1)
	v_mul_f64 v[2:3], v[110:111], v[10:11]
	v_fma_f64 v[58:59], v[108:109], v[8:9], -v[2:3]
	v_mul_f64 v[2:3], v[108:109], v[10:11]
	buffer_store_dword v8, off, s[60:63], 0 offset:380 ; 4-byte Folded Spill
	buffer_store_dword v9, off, s[60:63], 0 offset:384 ; 4-byte Folded Spill
	;; [unrolled: 1-line block ×4, first 2 shown]
	v_mul_f64 v[108:109], v[251:252], s[36:37]
	v_fma_f64 v[60:61], v[110:111], v[8:9], v[2:3]
	s_clause 0x1
	global_load_dwordx4 v[12:15], v[0:1], off offset:768
	global_load_dwordx4 v[8:11], v[0:1], off offset:752
	v_mul_f64 v[110:111], v[54:55], s[22:23]
	s_waitcnt vmcnt(1)
	v_mul_f64 v[0:1], v[174:175], v[14:15]
	v_fma_f64 v[2:3], v[172:173], v[12:13], -v[0:1]
	v_mul_f64 v[0:1], v[172:173], v[14:15]
	buffer_store_dword v12, off, s[60:63], 0 offset:412 ; 4-byte Folded Spill
	buffer_store_dword v13, off, s[60:63], 0 offset:416 ; 4-byte Folded Spill
	;; [unrolled: 1-line block ×4, first 2 shown]
	v_add_f64 v[14:15], v[228:229], v[86:87]
	v_fma_f64 v[36:37], v[174:175], v[12:13], v[0:1]
	v_mul_f64 v[0:1], v[170:171], v[6:7]
	v_fma_f64 v[62:63], v[168:169], v[4:5], -v[0:1]
	v_mul_f64 v[0:1], v[168:169], v[6:7]
	buffer_store_dword v4, off, s[60:63], 0 offset:364 ; 4-byte Folded Spill
	buffer_store_dword v5, off, s[60:63], 0 offset:368 ; 4-byte Folded Spill
	;; [unrolled: 1-line block ×4, first 2 shown]
	v_fma_f64 v[64:65], v[170:171], v[4:5], v[0:1]
	s_waitcnt vmcnt(0)
	v_mul_f64 v[0:1], v[166:167], v[10:11]
	v_fma_f64 v[202:203], v[164:165], v[8:9], -v[0:1]
	v_mul_f64 v[0:1], v[164:165], v[10:11]
	buffer_store_dword v8, off, s[60:63], 0 offset:396 ; 4-byte Folded Spill
	buffer_store_dword v9, off, s[60:63], 0 offset:400 ; 4-byte Folded Spill
	;; [unrolled: 1-line block ×4, first 2 shown]
	v_add_f64 v[10:11], v[222:223], -v[44:45]
	v_add_f64 v[164:165], v[233:234], v[66:67]
	v_mul_f64 v[6:7], v[10:11], s[40:41]
	buffer_store_dword v6, off, s[60:63], 0 offset:516 ; 4-byte Folded Spill
	buffer_store_dword v7, off, s[60:63], 0 offset:520 ; 4-byte Folded Spill
	v_mul_f64 v[118:119], v[10:11], s[36:37]
	v_fma_f64 v[72:73], v[28:29], s[34:35], -v[118:119]
	v_fma_f64 v[102:103], v[166:167], v[8:9], v[0:1]
	v_fma_f64 v[0:1], v[184:185], s[12:13], v[98:99]
	v_add_f64 v[8:9], v[222:223], v[44:45]
	v_mul_f64 v[166:167], v[54:55], s[6:7]
	v_add_f64 v[0:1], v[180:181], v[0:1]
	v_fma_f64 v[4:5], v[8:9], s[14:15], v[100:101]
	v_add_f64 v[0:1], v[4:5], v[0:1]
	v_fma_f64 v[4:5], v[164:165], s[12:13], -v[50:51]
	v_fma_f64 v[12:13], v[28:29], s[14:15], -v[6:7]
	v_mul_f64 v[6:7], v[56:57], s[42:43]
	v_add_f64 v[4:5], v[182:183], v[4:5]
	v_add_f64 v[4:5], v[12:13], v[4:5]
	v_fma_f64 v[12:13], v[253:254], s[2:3], v[166:167]
	v_add_f64 v[0:1], v[12:13], v[0:1]
	v_fma_f64 v[12:13], v[14:15], s[2:3], -v[188:189]
	v_add_f64 v[4:5], v[12:13], v[4:5]
	v_fma_f64 v[12:13], v[245:246], s[18:19], v[6:7]
	v_add_f64 v[0:1], v[12:13], v[0:1]
	v_mul_f64 v[12:13], v[70:71], s[42:43]
	buffer_store_dword v12, off, s[60:63], 0 offset:556 ; 4-byte Folded Spill
	buffer_store_dword v13, off, s[60:63], 0 offset:560 ; 4-byte Folded Spill
	;; [unrolled: 1-line block ×6, first 2 shown]
	v_fma_f64 v[12:13], v[48:49], s[18:19], -v[12:13]
	v_add_f64 v[84:85], v[26:27], -v[198:199]
	v_add_f64 v[243:244], v[30:31], v[18:19]
	v_add_f64 v[30:31], v[58:59], v[2:3]
	v_mul_f64 v[26:27], v[10:11], s[42:43]
	v_add_f64 v[4:5], v[12:13], v[4:5]
	v_fma_f64 v[12:13], v[20:21], s[20:21], v[241:242]
	v_mul_f64 v[96:97], v[84:85], s[52:53]
	v_mul_f64 v[204:205], v[84:85], s[6:7]
	v_add_f64 v[0:1], v[12:13], v[0:1]
	v_mul_f64 v[12:13], v[84:85], s[24:25]
	buffer_store_dword v12, off, s[60:63], 0 offset:580 ; 4-byte Folded Spill
	buffer_store_dword v13, off, s[60:63], 0 offset:584 ; 4-byte Folded Spill
	v_fma_f64 v[12:13], v[243:244], s[20:21], -v[12:13]
	v_add_f64 v[4:5], v[12:13], v[4:5]
	v_mul_f64 v[12:13], v[88:89], s[28:29]
	buffer_store_dword v12, off, s[60:63], 0 offset:532 ; 4-byte Folded Spill
	buffer_store_dword v13, off, s[60:63], 0 offset:536 ; 4-byte Folded Spill
	;; [unrolled: 1-line block ×10, first 2 shown]
	v_fma_f64 v[12:13], v[42:43], s[26:27], v[12:13]
	v_add_f64 v[190:191], v[34:35], -v[16:17]
	v_add_f64 v[192:193], v[38:39], v[22:23]
	v_add_f64 v[34:35], v[60:61], -v[36:37]
	v_add_f64 v[16:17], v[64:65], -v[102:103]
	v_add_f64 v[0:1], v[12:13], v[0:1]
	v_mul_f64 v[12:13], v[190:191], s[28:29]
	buffer_store_dword v12, off, s[60:63], 0 offset:572 ; 4-byte Folded Spill
	buffer_store_dword v13, off, s[60:63], 0 offset:576 ; 4-byte Folded Spill
	v_mul_f64 v[22:23], v[16:17], s[36:37]
	v_fma_f64 v[12:13], v[192:193], s[26:27], -v[12:13]
	v_add_f64 v[4:5], v[12:13], v[4:5]
	v_mul_f64 v[12:13], v[34:35], s[50:51]
	buffer_store_dword v12, off, s[60:63], 0 offset:508 ; 4-byte Folded Spill
	buffer_store_dword v13, off, s[60:63], 0 offset:512 ; 4-byte Folded Spill
	;; [unrolled: 1-line block ×8, first 2 shown]
	v_fma_f64 v[12:13], v[30:31], s[30:31], v[12:13]
	v_add_f64 v[194:195], v[58:59], -v[2:3]
	v_add_f64 v[200:201], v[60:61], v[36:37]
	v_mul_f64 v[58:59], v[212:213], s[6:7]
	v_add_f64 v[12:13], v[12:13], v[0:1]
	v_mul_f64 v[0:1], v[194:195], s[50:51]
	buffer_store_dword v0, off, s[60:63], 0 offset:564 ; 4-byte Folded Spill
	buffer_store_dword v1, off, s[60:63], 0 offset:568 ; 4-byte Folded Spill
	;; [unrolled: 1-line block ×4, first 2 shown]
	v_fma_f64 v[0:1], v[200:201], s[30:31], -v[0:1]
	v_add_f64 v[4:5], v[0:1], v[4:5]
	v_add_f64 v[0:1], v[62:63], v[202:203]
	buffer_store_dword v62, off, s[60:63], 0 offset:524 ; 4-byte Folded Spill
	buffer_store_dword v63, off, s[60:63], 0 offset:528 ; 4-byte Folded Spill
	;; [unrolled: 1-line block ×4, first 2 shown]
	v_fma_f64 v[22:23], v[0:1], s[34:35], v[22:23]
	v_add_f64 v[104:105], v[22:23], v[12:13]
	v_add_f64 v[12:13], v[62:63], -v[202:203]
	v_add_f64 v[38:39], v[64:65], v[102:103]
	v_mul_f64 v[64:65], v[88:89], s[50:51]
	v_mul_f64 v[62:63], v[212:213], s[42:43]
	;; [unrolled: 1-line block ×3, first 2 shown]
	buffer_store_dword v22, off, s[60:63], 0 offset:548 ; 4-byte Folded Spill
	buffer_store_dword v23, off, s[60:63], 0 offset:552 ; 4-byte Folded Spill
	v_fma_f64 v[22:23], v[38:39], s[34:35], -v[22:23]
	v_add_f64 v[106:107], v[22:23], v[4:5]
	v_mul_f64 v[22:23], v[251:252], s[42:43]
	buffer_store_dword v22, off, s[60:63], 0 offset:732 ; 4-byte Folded Spill
	buffer_store_dword v23, off, s[60:63], 0 offset:736 ; 4-byte Folded Spill
	;; [unrolled: 1-line block ×4, first 2 shown]
	v_fma_f64 v[4:5], v[184:185], s[14:15], v[206:207]
	v_add_f64 v[4:5], v[180:181], v[4:5]
	v_fma_f64 v[22:23], v[8:9], s[18:19], v[22:23]
	v_fma_f64 v[26:27], v[28:29], s[18:19], -v[26:27]
	v_add_f64 v[4:5], v[22:23], v[4:5]
	v_fma_f64 v[22:23], v[164:165], s[14:15], -v[208:209]
	v_add_f64 v[22:23], v[182:183], v[22:23]
	v_add_f64 v[22:23], v[26:27], v[22:23]
	v_mul_f64 v[26:27], v[54:55], s[28:29]
	buffer_store_dword v26, off, s[60:63], 0 offset:708 ; 4-byte Folded Spill
	buffer_store_dword v27, off, s[60:63], 0 offset:712 ; 4-byte Folded Spill
	v_fma_f64 v[26:27], v[253:254], s[26:27], v[26:27]
	v_add_f64 v[4:5], v[26:27], v[4:5]
	v_mul_f64 v[26:27], v[52:53], s[28:29]
	buffer_store_dword v26, off, s[60:63], 0 offset:740 ; 4-byte Folded Spill
	buffer_store_dword v27, off, s[60:63], 0 offset:744 ; 4-byte Folded Spill
	v_fma_f64 v[26:27], v[14:15], s[26:27], -v[26:27]
	v_add_f64 v[22:23], v[26:27], v[22:23]
	v_mul_f64 v[26:27], v[56:57], s[36:37]
	buffer_store_dword v26, off, s[60:63], 0 offset:692 ; 4-byte Folded Spill
	buffer_store_dword v27, off, s[60:63], 0 offset:696 ; 4-byte Folded Spill
	v_fma_f64 v[26:27], v[245:246], s[34:35], v[26:27]
	v_add_f64 v[4:5], v[26:27], v[4:5]
	v_mul_f64 v[26:27], v[70:71], s[36:37]
	buffer_store_dword v26, off, s[60:63], 0 offset:716 ; 4-byte Folded Spill
	buffer_store_dword v27, off, s[60:63], 0 offset:720 ; 4-byte Folded Spill
	v_fma_f64 v[26:27], v[48:49], s[34:35], -v[26:27]
	;; [unrolled: 10-line block ×5, first 2 shown]
	v_add_f64 v[22:23], v[26:27], v[22:23]
	v_mul_f64 v[26:27], v[16:17], s[46:47]
	buffer_store_dword v26, off, s[60:63], 0 offset:588 ; 4-byte Folded Spill
	buffer_store_dword v27, off, s[60:63], 0 offset:592 ; 4-byte Folded Spill
	v_fma_f64 v[26:27], v[0:1], s[12:13], v[26:27]
	v_add_f64 v[168:169], v[26:27], v[4:5]
	v_mul_f64 v[4:5], v[12:13], s[46:47]
	buffer_store_dword v4, off, s[60:63], 0 offset:596 ; 4-byte Folded Spill
	buffer_store_dword v5, off, s[60:63], 0 offset:600 ; 4-byte Folded Spill
	v_mul_f64 v[26:27], v[10:11], s[28:29]
	v_fma_f64 v[4:5], v[38:39], s[12:13], -v[4:5]
	v_add_f64 v[170:171], v[4:5], v[22:23]
	v_mul_f64 v[22:23], v[251:252], s[28:29]
	buffer_store_dword v22, off, s[60:63], 0 offset:772 ; 4-byte Folded Spill
	buffer_store_dword v23, off, s[60:63], 0 offset:776 ; 4-byte Folded Spill
	;; [unrolled: 1-line block ×4, first 2 shown]
	v_fma_f64 v[4:5], v[184:185], s[2:3], v[210:211]
	v_add_f64 v[4:5], v[180:181], v[4:5]
	v_fma_f64 v[22:23], v[8:9], s[26:27], v[22:23]
	v_fma_f64 v[26:27], v[28:29], s[26:27], -v[26:27]
	v_add_f64 v[4:5], v[22:23], v[4:5]
	v_fma_f64 v[22:23], v[164:165], s[2:3], -v[58:59]
	v_add_f64 v[22:23], v[182:183], v[22:23]
	v_add_f64 v[22:23], v[26:27], v[22:23]
	v_mul_f64 v[26:27], v[54:55], s[54:55]
	buffer_store_dword v26, off, s[60:63], 0 offset:764 ; 4-byte Folded Spill
	buffer_store_dword v27, off, s[60:63], 0 offset:768 ; 4-byte Folded Spill
	v_fma_f64 v[26:27], v[253:254], s[34:35], v[26:27]
	v_add_f64 v[4:5], v[26:27], v[4:5]
	v_mul_f64 v[26:27], v[52:53], s[54:55]
	buffer_store_dword v26, off, s[60:63], 0 offset:796 ; 4-byte Folded Spill
	buffer_store_dword v27, off, s[60:63], 0 offset:800 ; 4-byte Folded Spill
	v_fma_f64 v[26:27], v[14:15], s[34:35], -v[26:27]
	v_add_f64 v[22:23], v[26:27], v[22:23]
	v_mul_f64 v[26:27], v[56:57], s[22:23]
	buffer_store_dword v26, off, s[60:63], 0 offset:756 ; 4-byte Folded Spill
	buffer_store_dword v27, off, s[60:63], 0 offset:760 ; 4-byte Folded Spill
	v_fma_f64 v[26:27], v[245:246], s[20:21], v[26:27]
	v_add_f64 v[4:5], v[26:27], v[4:5]
	v_mul_f64 v[26:27], v[70:71], s[22:23]
	buffer_store_dword v26, off, s[60:63], 0 offset:804 ; 4-byte Folded Spill
	buffer_store_dword v27, off, s[60:63], 0 offset:808 ; 4-byte Folded Spill
	v_fma_f64 v[26:27], v[48:49], s[20:21], -v[26:27]
	v_add_f64 v[22:23], v[26:27], v[22:23]
	v_mul_f64 v[26:27], v[24:25], s[52:53]
	buffer_store_dword v26, off, s[60:63], 0 offset:788 ; 4-byte Folded Spill
	buffer_store_dword v27, off, s[60:63], 0 offset:792 ; 4-byte Folded Spill
	v_fma_f64 v[26:27], v[20:21], s[14:15], v[26:27]
	v_add_f64 v[4:5], v[26:27], v[4:5]
	v_fma_f64 v[26:27], v[243:244], s[14:15], -v[96:97]
	v_add_f64 v[22:23], v[26:27], v[22:23]
	v_mul_f64 v[26:27], v[88:89], s[16:17]
	buffer_store_dword v26, off, s[60:63], 0 offset:652 ; 4-byte Folded Spill
	buffer_store_dword v27, off, s[60:63], 0 offset:656 ; 4-byte Folded Spill
	v_fma_f64 v[36:37], v[42:43], s[12:13], v[26:27]
	v_mul_f64 v[26:27], v[190:191], s[16:17]
	buffer_store_dword v26, off, s[60:63], 0 offset:668 ; 4-byte Folded Spill
	buffer_store_dword v27, off, s[60:63], 0 offset:672 ; 4-byte Folded Spill
	v_add_f64 v[4:5], v[36:37], v[4:5]
	v_fma_f64 v[36:37], v[192:193], s[12:13], -v[26:27]
	v_mul_f64 v[26:27], v[12:13], s[50:51]
	v_add_f64 v[36:37], v[36:37], v[22:23]
	v_mul_f64 v[22:23], v[34:35], s[42:43]
	buffer_store_dword v22, off, s[60:63], 0 offset:636 ; 4-byte Folded Spill
	buffer_store_dword v23, off, s[60:63], 0 offset:640 ; 4-byte Folded Spill
	v_fma_f64 v[22:23], v[30:31], s[18:19], v[22:23]
	v_add_f64 v[4:5], v[22:23], v[4:5]
	v_mul_f64 v[22:23], v[194:195], s[42:43]
	buffer_store_dword v22, off, s[60:63], 0 offset:644 ; 4-byte Folded Spill
	buffer_store_dword v23, off, s[60:63], 0 offset:648 ; 4-byte Folded Spill
	;; [unrolled: 1-line block ×4, first 2 shown]
	v_fma_f64 v[60:61], v[200:201], s[18:19], -v[22:23]
	v_mul_f64 v[22:23], v[16:17], s[50:51]
	v_add_f64 v[36:37], v[60:61], v[36:37]
	v_fma_f64 v[60:61], v[0:1], s[30:31], v[22:23]
	v_add_f64 v[172:173], v[60:61], v[4:5]
	v_fma_f64 v[4:5], v[38:39], s[30:31], -v[26:27]
	v_mul_f64 v[60:61], v[186:187], s[42:43]
	v_add_f64 v[174:175], v[4:5], v[36:37]
	v_fma_f64 v[4:5], v[184:185], s[18:19], v[60:61]
	v_fma_f64 v[36:37], v[8:9], s[34:35], v[108:109]
	v_add_f64 v[4:5], v[180:181], v[4:5]
	v_add_f64 v[4:5], v[36:37], v[4:5]
	v_fma_f64 v[36:37], v[164:165], s[18:19], -v[62:63]
	v_add_f64 v[36:37], v[182:183], v[36:37]
	v_add_f64 v[36:37], v[72:73], v[36:37]
	v_fma_f64 v[72:73], v[253:254], s[20:21], v[110:111]
	v_add_f64 v[4:5], v[72:73], v[4:5]
	v_fma_f64 v[72:73], v[14:15], s[20:21], -v[216:217]
	v_add_f64 v[36:37], v[72:73], v[36:37]
	v_fma_f64 v[72:73], v[245:246], s[12:13], v[116:117]
	v_add_f64 v[72:73], v[72:73], v[4:5]
	v_fma_f64 v[4:5], v[48:49], s[12:13], -v[214:215]
	v_add_f64 v[36:37], v[4:5], v[36:37]
	v_mul_f64 v[4:5], v[24:25], s[6:7]
	v_fma_f64 v[74:75], v[20:21], s[2:3], v[4:5]
	v_add_f64 v[72:73], v[74:75], v[72:73]
	v_fma_f64 v[74:75], v[243:244], s[2:3], -v[204:205]
	v_add_f64 v[36:37], v[74:75], v[36:37]
	v_fma_f64 v[74:75], v[42:43], s[30:31], v[64:65]
	v_mul_f64 v[64:65], v[190:191], s[50:51]
	buffer_store_dword v64, off, s[60:63], 0 offset:724 ; 4-byte Folded Spill
	buffer_store_dword v65, off, s[60:63], 0 offset:728 ; 4-byte Folded Spill
	v_add_f64 v[72:73], v[74:75], v[72:73]
	v_fma_f64 v[74:75], v[192:193], s[30:31], -v[64:65]
	v_add_f64 v[74:75], v[74:75], v[36:37]
	v_mul_f64 v[36:37], v[34:35], s[44:45]
	buffer_store_dword v36, off, s[60:63], 0 offset:676 ; 4-byte Folded Spill
	buffer_store_dword v37, off, s[60:63], 0 offset:680 ; 4-byte Folded Spill
	v_fma_f64 v[80:81], v[30:31], s[26:27], v[36:37]
	v_mul_f64 v[36:37], v[16:17], s[52:53]
	v_add_f64 v[176:177], v[80:81], v[72:73]
	v_mul_f64 v[80:81], v[194:195], s[44:45]
	v_fma_f64 v[72:73], v[200:201], s[26:27], -v[80:81]
	v_add_f64 v[178:179], v[72:73], v[74:75]
	v_mul_f64 v[72:73], v[12:13], s[52:53]
	v_fma_f64 v[74:75], v[0:1], s[14:15], v[36:37]
	v_fma_f64 v[64:65], v[38:39], s[14:15], -v[72:73]
	v_add_f64 v[176:177], v[74:75], v[176:177]
	v_add_f64 v[178:179], v[64:65], v[178:179]
	s_and_saveexec_b32 s1, s0
	s_cbranch_execz .LBB0_9
; %bb.8:
	v_mul_f64 v[64:65], v[164:165], s[34:35]
	v_add_f64 v[230:231], v[180:181], v[230:231]
	v_add_f64 v[233:234], v[182:183], v[233:234]
	s_mov_b32 s57, 0x3fefdd0d
	s_mov_b32 s56, s42
	v_fma_f64 v[74:75], v[212:213], s[54:55], v[64:65]
	v_fma_f64 v[64:65], v[212:213], s[36:37], v[64:65]
	buffer_store_dword v74, off, s[60:63], 0 offset:812 ; 4-byte Folded Spill
	buffer_store_dword v75, off, s[60:63], 0 offset:816 ; 4-byte Folded Spill
	;; [unrolled: 1-line block ×8, first 2 shown]
	v_mov_b32_e32 v46, v220
	buffer_store_dword v68, off, s[60:63], 0 offset:852 ; 4-byte Folded Spill
	buffer_store_dword v69, off, s[60:63], 0 offset:856 ; 4-byte Folded Spill
	buffer_store_dword v22, off, s[60:63], 0 offset:876 ; 4-byte Folded Spill
	buffer_store_dword v23, off, s[60:63], 0 offset:880 ; 4-byte Folded Spill
	v_mul_f64 v[66:67], v[164:165], s[30:31]
	v_mov_b32_e32 v47, v221
	v_mul_f64 v[220:221], v[164:165], s[26:27]
	v_mul_f64 v[22:23], v[164:165], s[20:21]
	buffer_store_dword v222, off, s[60:63], 0 offset:932 ; 4-byte Folded Spill
	buffer_store_dword v223, off, s[60:63], 0 offset:936 ; 4-byte Folded Spill
	;; [unrolled: 1-line block ×4, first 2 shown]
	v_mul_f64 v[72:73], v[186:187], s[28:29]
	buffer_store_dword v2, off, s[60:63], 0 offset:964 ; 4-byte Folded Spill
	buffer_store_dword v3, off, s[60:63], 0 offset:968 ; 4-byte Folded Spill
	v_mov_b32_e32 v2, v224
	buffer_store_dword v26, off, s[60:63], 0 offset:884 ; 4-byte Folded Spill
	buffer_store_dword v27, off, s[60:63], 0 offset:888 ; 4-byte Folded Spill
	;; [unrolled: 1-line block ×4, first 2 shown]
	v_mov_b32_e32 v3, v225
	v_add_f64 v[64:65], v[182:183], v[64:65]
	v_fma_f64 v[18:19], v[212:213], s[48:49], v[66:67]
	v_fma_f64 v[66:67], v[212:213], s[50:51], v[66:67]
	;; [unrolled: 1-line block ×6, first 2 shown]
	v_mul_f64 v[212:213], v[164:165], s[18:19]
	v_fma_f64 v[26:27], v[184:185], s[26:27], v[72:73]
	v_fma_f64 v[72:73], v[184:185], s[26:27], -v[72:73]
	v_add_f64 v[18:19], v[182:183], v[18:19]
	v_add_f64 v[66:67], v[182:183], v[66:67]
	;; [unrolled: 1-line block ×7, first 2 shown]
	v_mul_f64 v[212:213], v[184:185], s[18:19]
	v_add_f64 v[26:27], v[180:181], v[26:27]
	v_add_f64 v[72:73], v[180:181], v[72:73]
	;; [unrolled: 1-line block ×3, first 2 shown]
	v_add_f64 v[60:61], v[212:213], -v[60:61]
	v_mul_f64 v[212:213], v[164:165], s[2:3]
	v_add_f64 v[60:61], v[180:181], v[60:61]
	v_add_f64 v[58:59], v[58:59], v[212:213]
	v_mul_f64 v[212:213], v[184:185], s[2:3]
	v_add_f64 v[58:59], v[182:183], v[58:59]
	v_add_f64 v[210:211], v[212:213], -v[210:211]
	v_mul_f64 v[212:213], v[164:165], s[14:15]
	v_mul_f64 v[164:165], v[164:165], s[12:13]
	v_add_f64 v[210:211], v[180:181], v[210:211]
	v_add_f64 v[208:209], v[208:209], v[212:213]
	v_mul_f64 v[212:213], v[184:185], s[14:15]
	v_add_f64 v[50:51], v[50:51], v[164:165]
	v_mul_f64 v[164:165], v[186:187], s[36:37]
	v_add_f64 v[208:209], v[182:183], v[208:209]
	v_add_f64 v[206:207], v[212:213], -v[206:207]
	v_mul_f64 v[212:213], v[186:187], s[50:51]
	v_mul_f64 v[186:187], v[186:187], s[24:25]
	v_fma_f64 v[224:225], v[184:185], s[34:35], v[164:165]
	v_fma_f64 v[164:165], v[184:185], s[34:35], -v[164:165]
	v_add_f64 v[50:51], v[182:183], v[50:51]
	v_add_f64 v[206:207], v[180:181], v[206:207]
	v_fma_f64 v[74:75], v[184:185], s[30:31], v[212:213]
	v_fma_f64 v[212:213], v[184:185], s[30:31], -v[212:213]
	v_fma_f64 v[76:77], v[184:185], s[20:21], v[186:187]
	v_fma_f64 v[186:187], v[184:185], s[20:21], -v[186:187]
	v_mul_f64 v[184:185], v[184:185], s[12:13]
	v_add_f64 v[224:225], v[180:181], v[224:225]
	v_add_f64 v[164:165], v[180:181], v[164:165]
	;; [unrolled: 1-line block ×5, first 2 shown]
	v_add_f64 v[98:99], v[184:185], -v[98:99]
	s_clause 0x1
	buffer_load_dword v184, off, s[60:63], 0 offset:812
	buffer_load_dword v185, off, s[60:63], 0 offset:816
	buffer_store_dword v236, off, s[60:63], 0 offset:812 ; 4-byte Folded Spill
	v_mov_b32_e32 v236, v79
	v_add_f64 v[78:79], v[180:181], v[186:187]
	v_mul_f64 v[186:187], v[28:29], s[12:13]
	v_add_f64 v[98:99], v[180:181], v[98:99]
	buffer_store_dword v98, off, s[60:63], 0 offset:988 ; 4-byte Folded Spill
	buffer_store_dword v99, off, s[60:63], 0 offset:992 ; 4-byte Folded Spill
	v_fma_f64 v[180:181], v[10:11], s[16:17], v[186:187]
	v_mov_b32_e32 v99, v7
	v_mov_b32_e32 v98, v6
	;; [unrolled: 1-line block ×4, first 2 shown]
	buffer_store_dword v241, off, s[60:63], 0 offset:972 ; 4-byte Folded Spill
	buffer_store_dword v242, off, s[60:63], 0 offset:976 ; 4-byte Folded Spill
	v_mov_b32_e32 v242, v167
	v_mov_b32_e32 v241, v166
	;; [unrolled: 1-line block ×6, first 2 shown]
	buffer_store_dword v36, off, s[60:63], 0 offset:916 ; 4-byte Folded Spill
	buffer_store_dword v37, off, s[60:63], 0 offset:920 ; 4-byte Folded Spill
	;; [unrolled: 1-line block ×4, first 2 shown]
	v_mul_f64 v[80:81], v[56:57], s[52:53]
	buffer_store_dword v82, off, s[60:63], 0 offset:820 ; 4-byte Folded Spill
	buffer_store_dword v83, off, s[60:63], 0 offset:824 ; 4-byte Folded Spill
	v_mul_f64 v[82:83], v[243:244], s[26:27]
	v_fma_f64 v[186:187], v[10:11], s[46:47], v[186:187]
	buffer_store_dword v44, off, s[60:63], 0 offset:908 ; 4-byte Folded Spill
	buffer_store_dword v45, off, s[60:63], 0 offset:912 ; 4-byte Folded Spill
	v_mul_f64 v[44:45], v[24:25], s[28:29]
	buffer_store_dword v86, off, s[60:63], 0 offset:924 ; 4-byte Folded Spill
	buffer_store_dword v87, off, s[60:63], 0 offset:928 ; 4-byte Folded Spill
	v_mul_f64 v[86:87], v[192:193], s[2:3]
	buffer_store_dword v196, off, s[60:63], 0 offset:948 ; 4-byte Folded Spill
	buffer_store_dword v197, off, s[60:63], 0 offset:952 ; 4-byte Folded Spill
	;; [unrolled: 1-line block ×4, first 2 shown]
	v_mov_b32_e32 v196, v237
	v_mov_b32_e32 v197, v238
	;; [unrolled: 1-line block ×4, first 2 shown]
	v_mul_f64 v[239:240], v[88:89], s[38:39]
	buffer_store_dword v104, off, s[60:63], 0 offset:828 ; 4-byte Folded Spill
	buffer_store_dword v105, off, s[60:63], 0 offset:832 ; 4-byte Folded Spill
	;; [unrolled: 1-line block ×4, first 2 shown]
	v_mov_b32_e32 v104, v160
	v_mov_b32_e32 v105, v161
	;; [unrolled: 1-line block ×10, first 2 shown]
	v_add_f64 v[64:65], v[186:187], v[64:65]
	v_mov_b32_e32 v157, v153
	v_mov_b32_e32 v156, v152
	;; [unrolled: 1-line block ×46, first 2 shown]
	v_mul_f64 v[90:91], v[200:201], s[20:21]
	v_mul_f64 v[92:93], v[34:35], s[24:25]
	buffer_store_dword v94, off, s[60:63], 0 offset:956 ; 4-byte Folded Spill
	buffer_store_dword v95, off, s[60:63], 0 offset:960 ; 4-byte Folded Spill
	v_mul_f64 v[94:95], v[38:39], s[18:19]
	s_waitcnt vmcnt(0)
	v_add_f64 v[184:185], v[182:183], v[184:185]
	v_add_f64 v[180:181], v[180:181], v[184:185]
	v_mul_f64 v[184:185], v[251:252], s[46:47]
	v_fma_f64 v[182:183], v[8:9], s[12:13], v[184:185]
	v_fma_f64 v[184:185], v[8:9], s[12:13], -v[184:185]
	v_add_f64 v[182:183], v[182:183], v[224:225]
	v_mul_f64 v[224:225], v[14:15], s[30:31]
	v_add_f64 v[164:165], v[184:185], v[164:165]
	v_fma_f64 v[226:227], v[52:53], s[48:49], v[224:225]
	v_fma_f64 v[184:185], v[52:53], s[50:51], v[224:225]
	v_add_f64 v[180:181], v[226:227], v[180:181]
	v_mul_f64 v[226:227], v[54:55], s[50:51]
	v_add_f64 v[64:65], v[184:185], v[64:65]
	v_fma_f64 v[228:229], v[253:254], s[30:31], v[226:227]
	v_fma_f64 v[184:185], v[253:254], s[30:31], -v[226:227]
	v_add_f64 v[182:183], v[228:229], v[182:183]
	v_mul_f64 v[228:229], v[48:49], s[14:15]
	v_add_f64 v[164:165], v[184:185], v[164:165]
	v_fma_f64 v[36:37], v[70:71], s[40:41], v[228:229]
	v_fma_f64 v[184:185], v[70:71], s[52:53], v[228:229]
	v_add_f64 v[36:37], v[36:37], v[180:181]
	v_fma_f64 v[180:181], v[245:246], s[14:15], v[80:81]
	v_fma_f64 v[80:81], v[245:246], s[14:15], -v[80:81]
	v_add_f64 v[64:65], v[184:185], v[64:65]
	v_add_f64 v[180:181], v[180:181], v[182:183]
	v_fma_f64 v[182:183], v[84:85], s[44:45], v[82:83]
	v_add_f64 v[80:81], v[80:81], v[164:165]
	v_fma_f64 v[82:83], v[84:85], s[28:29], v[82:83]
	;; [unrolled: 2-line block ×3, first 2 shown]
	v_fma_f64 v[44:45], v[20:21], s[26:27], -v[44:45]
	v_add_f64 v[64:65], v[82:83], v[64:65]
	v_mul_f64 v[82:83], v[243:244], s[18:19]
	v_add_f64 v[180:181], v[182:183], v[180:181]
	v_fma_f64 v[182:183], v[190:191], s[6:7], v[86:87]
	v_add_f64 v[44:45], v[44:45], v[80:81]
	v_fma_f64 v[80:81], v[190:191], s[38:39], v[86:87]
	v_mul_f64 v[86:87], v[192:193], s[14:15]
	v_add_f64 v[36:37], v[182:183], v[36:37]
	v_fma_f64 v[182:183], v[42:43], s[2:3], v[239:240]
	v_add_f64 v[64:65], v[80:81], v[64:65]
	v_fma_f64 v[80:81], v[42:43], s[2:3], -v[239:240]
	v_add_f64 v[180:181], v[182:183], v[180:181]
	v_fma_f64 v[182:183], v[194:195], s[22:23], v[90:91]
	v_add_f64 v[44:45], v[80:81], v[44:45]
	v_fma_f64 v[80:81], v[194:195], s[24:25], v[90:91]
	v_mul_f64 v[90:91], v[200:201], s[34:35]
	v_add_f64 v[36:37], v[182:183], v[36:37]
	v_fma_f64 v[182:183], v[30:31], s[20:21], v[92:93]
	v_add_f64 v[64:65], v[80:81], v[64:65]
	v_fma_f64 v[80:81], v[30:31], s[20:21], -v[92:93]
	v_add_f64 v[180:181], v[182:183], v[180:181]
	v_fma_f64 v[182:183], v[12:13], s[42:43], v[94:95]
	v_add_f64 v[44:45], v[80:81], v[44:45]
	v_fma_f64 v[80:81], v[12:13], s[56:57], v[94:95]
	v_add_f64 v[182:183], v[182:183], v[36:37]
	v_mul_f64 v[36:37], v[16:17], s[56:57]
	v_add_f64 v[186:187], v[80:81], v[64:65]
	v_fma_f64 v[237:238], v[0:1], s[18:19], v[36:37]
	v_fma_f64 v[36:37], v[0:1], s[18:19], -v[36:37]
	v_add_f64 v[180:181], v[237:238], v[180:181]
	v_add_f64 v[184:185], v[36:37], v[44:45]
	v_mul_f64 v[36:37], v[28:29], s[2:3]
	v_mov_b32_e32 v240, v199
	v_mov_b32_e32 v239, v198
	;; [unrolled: 1-line block ×4, first 2 shown]
	v_fma_f64 v[44:45], v[10:11], s[6:7], v[36:37]
	v_fma_f64 v[36:37], v[10:11], s[38:39], v[36:37]
	v_add_f64 v[18:19], v[44:45], v[18:19]
	v_mul_f64 v[44:45], v[251:252], s[38:39]
	v_add_f64 v[36:37], v[36:37], v[66:67]
	v_mul_f64 v[66:67], v[14:15], s[18:19]
	v_fma_f64 v[64:65], v[8:9], s[2:3], v[44:45]
	v_fma_f64 v[44:45], v[8:9], s[2:3], -v[44:45]
	v_add_f64 v[64:65], v[64:65], v[74:75]
	v_fma_f64 v[74:75], v[52:53], s[56:57], v[66:67]
	v_fma_f64 v[66:67], v[52:53], s[42:43], v[66:67]
	v_add_f64 v[44:45], v[44:45], v[212:213]
	v_add_f64 v[18:19], v[74:75], v[18:19]
	v_mul_f64 v[74:75], v[54:55], s[42:43]
	v_add_f64 v[36:37], v[66:67], v[36:37]
	v_fma_f64 v[66:67], v[253:254], s[18:19], -v[74:75]
	v_fma_f64 v[80:81], v[253:254], s[18:19], v[74:75]
	v_add_f64 v[44:45], v[66:67], v[44:45]
	v_mul_f64 v[66:67], v[48:49], s[26:27]
	v_add_f64 v[64:65], v[80:81], v[64:65]
	v_fma_f64 v[74:75], v[70:71], s[28:29], v[66:67]
	v_fma_f64 v[66:67], v[70:71], s[44:45], v[66:67]
	v_add_f64 v[18:19], v[74:75], v[18:19]
	v_mul_f64 v[74:75], v[56:57], s[44:45]
	v_add_f64 v[36:37], v[66:67], v[36:37]
	v_fma_f64 v[66:67], v[245:246], s[26:27], -v[74:75]
	v_fma_f64 v[80:81], v[245:246], s[26:27], v[74:75]
	v_add_f64 v[44:45], v[66:67], v[44:45]
	v_mul_f64 v[66:67], v[243:244], s[12:13]
	v_add_f64 v[64:65], v[80:81], v[64:65]
	v_fma_f64 v[74:75], v[84:85], s[46:47], v[66:67]
	v_fma_f64 v[66:67], v[84:85], s[16:17], v[66:67]
	v_add_f64 v[18:19], v[74:75], v[18:19]
	v_mul_f64 v[74:75], v[24:25], s[16:17]
	v_add_f64 v[36:37], v[66:67], v[36:37]
	v_fma_f64 v[66:67], v[20:21], s[12:13], -v[74:75]
	v_fma_f64 v[80:81], v[20:21], s[12:13], v[74:75]
	v_add_f64 v[44:45], v[66:67], v[44:45]
	v_mul_f64 v[66:67], v[192:193], s[34:35]
	v_add_f64 v[64:65], v[80:81], v[64:65]
	v_fma_f64 v[74:75], v[190:191], s[54:55], v[66:67]
	v_fma_f64 v[66:67], v[190:191], s[36:37], v[66:67]
	v_add_f64 v[18:19], v[74:75], v[18:19]
	v_mul_f64 v[74:75], v[88:89], s[36:37]
	v_add_f64 v[36:37], v[66:67], v[36:37]
	v_fma_f64 v[66:67], v[42:43], s[34:35], -v[74:75]
	v_fma_f64 v[80:81], v[42:43], s[34:35], v[74:75]
	v_add_f64 v[44:45], v[66:67], v[44:45]
	v_mul_f64 v[66:67], v[200:201], s[14:15]
	v_add_f64 v[64:65], v[80:81], v[64:65]
	v_mul_f64 v[80:81], v[34:35], s[52:53]
	v_fma_f64 v[74:75], v[194:195], s[40:41], v[66:67]
	v_add_f64 v[18:19], v[74:75], v[18:19]
	v_fma_f64 v[74:75], v[30:31], s[14:15], v[80:81]
	v_add_f64 v[74:75], v[74:75], v[64:65]
	v_fma_f64 v[64:65], v[194:195], s[52:53], v[66:67]
	v_add_f64 v[164:165], v[64:65], v[36:37]
	v_fma_f64 v[36:37], v[30:31], s[14:15], -v[80:81]
	v_mul_f64 v[80:81], v[48:49], s[30:31]
	v_add_f64 v[64:65], v[36:37], v[44:45]
	v_mul_f64 v[36:37], v[28:29], s[20:21]
	v_fma_f64 v[44:45], v[10:11], s[24:25], v[36:37]
	v_fma_f64 v[36:37], v[10:11], s[22:23], v[36:37]
	v_add_f64 v[44:45], v[44:45], v[68:69]
	v_mul_f64 v[68:69], v[14:15], s[12:13]
	v_add_f64 v[36:37], v[36:37], v[220:221]
	v_mov_b32_e32 v221, v47
	v_mov_b32_e32 v220, v46
	s_clause 0x1
	buffer_load_dword v46, off, s[60:63], 0 offset:780
	buffer_load_dword v47, off, s[60:63], 0 offset:784
	v_fma_f64 v[66:67], v[52:53], s[46:47], v[68:69]
	v_fma_f64 v[68:69], v[52:53], s[16:17], v[68:69]
	v_add_f64 v[44:45], v[66:67], v[44:45]
	v_fma_f64 v[66:67], v[70:71], s[48:49], v[80:81]
	v_add_f64 v[36:37], v[68:69], v[36:37]
	v_fma_f64 v[68:69], v[70:71], s[50:51], v[80:81]
	v_mul_f64 v[80:81], v[14:15], s[14:15]
	v_add_f64 v[44:45], v[66:67], v[44:45]
	v_fma_f64 v[66:67], v[84:85], s[42:43], v[82:83]
	v_add_f64 v[36:37], v[68:69], v[36:37]
	v_fma_f64 v[68:69], v[84:85], s[56:57], v[82:83]
	v_fma_f64 v[82:83], v[52:53], s[40:41], v[80:81]
	;; [unrolled: 1-line block ×3, first 2 shown]
	v_add_f64 v[44:45], v[66:67], v[44:45]
	v_fma_f64 v[66:67], v[190:191], s[52:53], v[86:87]
	v_add_f64 v[36:37], v[68:69], v[36:37]
	v_fma_f64 v[68:69], v[190:191], s[40:41], v[86:87]
	;; [unrolled: 2-line block ×4, first 2 shown]
	v_add_f64 v[66:67], v[66:67], v[44:45]
	v_mul_f64 v[44:45], v[251:252], s[22:23]
	v_add_f64 v[36:37], v[68:69], v[36:37]
	v_fma_f64 v[92:93], v[8:9], s[20:21], v[44:45]
	v_fma_f64 v[44:45], v[8:9], s[20:21], -v[44:45]
	v_add_f64 v[26:27], v[92:93], v[26:27]
	v_mul_f64 v[92:93], v[54:55], s[16:17]
	v_add_f64 v[44:45], v[44:45], v[72:73]
	v_mul_f64 v[54:55], v[54:55], s[52:53]
	v_fma_f64 v[94:95], v[253:254], s[12:13], v[92:93]
	v_fma_f64 v[68:69], v[253:254], s[12:13], -v[92:93]
	v_add_f64 v[26:27], v[94:95], v[26:27]
	v_mul_f64 v[94:95], v[56:57], s[50:51]
	v_add_f64 v[44:45], v[68:69], v[44:45]
	v_mul_f64 v[56:57], v[56:57], s[6:7]
	v_fma_f64 v[212:213], v[245:246], s[30:31], v[94:95]
	v_fma_f64 v[68:69], v[245:246], s[30:31], -v[94:95]
	v_add_f64 v[26:27], v[212:213], v[26:27]
	v_mul_f64 v[212:213], v[24:25], s[56:57]
	v_add_f64 v[44:45], v[68:69], v[44:45]
	v_fma_f64 v[224:225], v[20:21], s[18:19], v[212:213]
	v_fma_f64 v[68:69], v[20:21], s[18:19], -v[212:213]
	v_add_f64 v[26:27], v[224:225], v[26:27]
	v_mul_f64 v[224:225], v[88:89], s[40:41]
	v_add_f64 v[44:45], v[68:69], v[44:45]
	v_fma_f64 v[68:69], v[42:43], s[14:15], -v[224:225]
	v_fma_f64 v[226:227], v[42:43], s[14:15], v[224:225]
	v_add_f64 v[44:45], v[68:69], v[44:45]
	v_mul_f64 v[68:69], v[28:29], s[30:31]
	v_add_f64 v[26:27], v[226:227], v[26:27]
	v_fma_f64 v[72:73], v[10:11], s[50:51], v[68:69]
	v_fma_f64 v[10:11], v[10:11], s[48:49], v[68:69]
	;; [unrolled: 1-line block ×3, first 2 shown]
	v_fma_f64 v[56:57], v[245:246], s[2:3], -v[56:57]
	v_add_f64 v[72:73], v[72:73], v[222:223]
	v_add_f64 v[10:11], v[10:11], v[22:23]
	v_mul_f64 v[22:23], v[24:25], s[36:37]
	v_add_f64 v[72:73], v[82:83], v[72:73]
	v_mul_f64 v[82:83], v[48:49], s[2:3]
	v_fma_f64 v[24:25], v[20:21], s[34:35], v[22:23]
	v_add_f64 v[10:11], v[52:53], v[10:11]
	v_mul_f64 v[52:53], v[88:89], s[56:57]
	v_mul_f64 v[88:89], v[8:9], s[18:19]
	v_fma_f64 v[22:23], v[20:21], s[34:35], -v[22:23]
	v_fma_f64 v[86:87], v[70:71], s[38:39], v[82:83]
	v_add_f64 v[72:73], v[86:87], v[72:73]
	v_mul_f64 v[86:87], v[243:244], s[34:35]
	v_fma_f64 v[90:91], v[84:85], s[54:55], v[86:87]
	v_add_f64 v[72:73], v[90:91], v[72:73]
	v_mul_f64 v[90:91], v[192:193], s[18:19]
	v_fma_f64 v[92:93], v[190:191], s[42:43], v[90:91]
	v_add_f64 v[72:73], v[92:93], v[72:73]
	v_mul_f64 v[92:93], v[251:252], s[48:49]
	v_fma_f64 v[94:95], v[8:9], s[30:31], v[92:93]
	v_add_f64 v[76:77], v[94:95], v[76:77]
	v_fma_f64 v[94:95], v[253:254], s[14:15], v[54:55]
	v_fma_f64 v[54:55], v[253:254], s[14:15], -v[54:55]
	v_add_f64 v[76:77], v[94:95], v[76:77]
	v_add_f64 v[68:69], v[68:69], v[76:77]
	v_mul_f64 v[76:77], v[253:254], s[20:21]
	v_add_f64 v[24:25], v[24:25], v[68:69]
	v_fma_f64 v[68:69], v[70:71], s[6:7], v[82:83]
	v_mul_f64 v[82:83], v[14:15], s[34:35]
	v_add_f64 v[76:77], v[76:77], -v[110:111]
	v_fma_f64 v[70:71], v[42:43], s[18:19], v[52:53]
	v_add_f64 v[10:11], v[68:69], v[10:11]
	v_fma_f64 v[68:69], v[8:9], s[30:31], -v[92:93]
	v_add_f64 v[24:25], v[70:71], v[24:25]
	v_fma_f64 v[70:71], v[84:85], s[36:37], v[86:87]
	v_mul_f64 v[84:85], v[8:9], s[26:27]
	v_mul_f64 v[86:87], v[28:29], s[18:19]
	v_add_f64 v[68:69], v[68:69], v[78:79]
	v_add_f64 v[78:79], v[233:234], v[2:3]
	s_clause 0x1
	buffer_load_dword v2, off, s[60:63], 0 offset:932
	buffer_load_dword v3, off, s[60:63], 0 offset:936
	v_add_f64 v[10:11], v[70:71], v[10:11]
	v_add_f64 v[54:55], v[54:55], v[68:69]
	v_mul_f64 v[68:69], v[14:15], s[20:21]
	v_add_f64 v[54:55], v[56:57], v[54:55]
	v_mul_f64 v[56:57], v[28:29], s[34:35]
	v_add_f64 v[68:69], v[216:217], v[68:69]
	v_add_f64 v[22:23], v[22:23], v[54:55]
	;; [unrolled: 1-line block ×4, first 2 shown]
	v_mul_f64 v[62:63], v[48:49], s[12:13]
	v_add_f64 v[56:57], v[68:69], v[56:57]
	v_add_f64 v[62:63], v[214:215], v[62:63]
	v_mul_f64 v[68:69], v[243:244], s[2:3]
	v_add_f64 v[56:57], v[62:63], v[56:57]
	v_mul_f64 v[62:63], v[20:21], s[2:3]
	v_add_f64 v[68:69], v[204:205], v[68:69]
	v_add_f64 v[4:5], v[62:63], -v[4:5]
	v_mul_f64 v[62:63], v[8:9], s[34:35]
	v_mul_f64 v[8:9], v[8:9], s[14:15]
	v_add_f64 v[56:57], v[68:69], v[56:57]
	v_mul_f64 v[68:69], v[42:43], s[30:31]
	v_add_f64 v[62:63], v[62:63], -v[108:109]
	v_add_f64 v[8:9], v[8:9], -v[100:101]
	v_add_f64 v[60:61], v[62:63], v[60:61]
	v_mul_f64 v[62:63], v[245:246], s[12:13]
	v_add_f64 v[60:61], v[76:77], v[60:61]
	v_mul_f64 v[76:77], v[28:29], s[26:27]
	v_mul_f64 v[28:29], v[28:29], s[14:15]
	v_add_f64 v[62:63], v[62:63], -v[116:117]
	s_waitcnt vmcnt(2)
	v_add_f64 v[76:77], v[46:47], v[76:77]
	v_mul_f64 v[46:47], v[253:254], s[26:27]
	v_add_f64 v[58:59], v[76:77], v[58:59]
	v_add_f64 v[76:77], v[78:79], v[32:33]
	;; [unrolled: 1-line block ×3, first 2 shown]
	s_waitcnt vmcnt(0)
	v_add_f64 v[80:81], v[230:231], v[2:3]
	s_clause 0x1
	buffer_load_dword v2, off, s[60:63], 0 offset:796
	buffer_load_dword v3, off, s[60:63], 0 offset:800
	v_add_f64 v[78:79], v[80:81], v[6:7]
	v_mul_f64 v[80:81], v[48:49], s[20:21]
	v_add_f64 v[78:79], v[78:79], v[166:167]
	s_waitcnt vmcnt(0)
	v_add_f64 v[82:83], v[2:3], v[82:83]
	s_clause 0x1
	buffer_load_dword v2, off, s[60:63], 0 offset:804
	buffer_load_dword v3, off, s[60:63], 0 offset:808
	v_add_f64 v[58:59], v[82:83], v[58:59]
	v_mul_f64 v[82:83], v[243:244], s[14:15]
	v_add_f64 v[82:83], v[96:97], v[82:83]
	;; [unrolled: 8-line block ×3, first 2 shown]
	s_waitcnt vmcnt(0)
	v_add_f64 v[76:77], v[76:77], v[2:3]
	s_clause 0x1
	buffer_load_dword v2, off, s[60:63], 0 offset:444
	buffer_load_dword v3, off, s[60:63], 0 offset:448
	s_waitcnt vmcnt(0)
	v_add_f64 v[78:79], v[78:79], v[2:3]
	s_clause 0x1
	buffer_load_dword v2, off, s[60:63], 0 offset:788
	buffer_load_dword v3, off, s[60:63], 0 offset:792
	s_waitcnt vmcnt(0)
	v_add_f64 v[80:81], v[80:81], -v[2:3]
	s_clause 0x1
	buffer_load_dword v2, off, s[60:63], 0 offset:476
	buffer_load_dword v3, off, s[60:63], 0 offset:480
	s_waitcnt vmcnt(0)
	v_add_f64 v[76:77], v[76:77], v[2:3]
	s_clause 0x1
	buffer_load_dword v2, off, s[60:63], 0 offset:468
	buffer_load_dword v3, off, s[60:63], 0 offset:472
	s_waitcnt vmcnt(0)
	v_add_f64 v[78:79], v[78:79], v[2:3]
	s_clause 0x1
	buffer_load_dword v2, off, s[60:63], 0 offset:772
	buffer_load_dword v3, off, s[60:63], 0 offset:776
	s_waitcnt vmcnt(0)
	v_add_f64 v[84:85], v[84:85], -v[2:3]
	s_clause 0x1
	buffer_load_dword v2, off, s[60:63], 0 offset:492
	buffer_load_dword v3, off, s[60:63], 0 offset:496
	s_waitcnt vmcnt(0)
	v_add_f64 v[76:77], v[76:77], v[2:3]
	s_clause 0x1
	buffer_load_dword v2, off, s[60:63], 0 offset:484
	buffer_load_dword v3, off, s[60:63], 0 offset:488
	s_waitcnt vmcnt(0)
	v_add_f64 v[78:79], v[78:79], v[2:3]
	;; [unrolled: 5-line block ×3, first 2 shown]
	s_clause 0x1
	buffer_load_dword v2, off, s[60:63], 0 offset:540
	buffer_load_dword v3, off, s[60:63], 0 offset:544
	v_add_f64 v[86:87], v[86:87], v[208:209]
	s_waitcnt vmcnt(0)
	v_add_f64 v[40:41], v[76:77], v[2:3]
	s_clause 0x1
	buffer_load_dword v2, off, s[60:63], 0 offset:524
	buffer_load_dword v3, off, s[60:63], 0 offset:528
	v_mul_f64 v[76:77], v[253:254], s[34:35]
	v_add_f64 v[6:7], v[40:41], v[102:103]
	s_waitcnt vmcnt(0)
	v_add_f64 v[32:33], v[78:79], v[2:3]
	s_clause 0x1
	buffer_load_dword v2, off, s[60:63], 0 offset:764
	buffer_load_dword v3, off, s[60:63], 0 offset:768
	v_add_f64 v[78:79], v[84:85], v[210:211]
	v_mul_f64 v[84:85], v[14:15], s[26:27]
	v_mul_f64 v[14:15], v[14:15], s[2:3]
	v_add_f64 v[14:15], v[188:189], v[14:15]
	s_waitcnt vmcnt(0)
	v_add_f64 v[76:77], v[76:77], -v[2:3]
	s_clause 0x1
	buffer_load_dword v2, off, s[60:63], 0 offset:740
	buffer_load_dword v3, off, s[60:63], 0 offset:744
	s_waitcnt vmcnt(0)
	v_add_f64 v[84:85], v[2:3], v[84:85]
	s_clause 0x1
	buffer_load_dword v2, off, s[60:63], 0 offset:732
	buffer_load_dword v3, off, s[60:63], 0 offset:736
	s_waitcnt vmcnt(0)
	v_add_f64 v[88:89], v[88:89], -v[2:3]
	s_clause 0x3
	buffer_load_dword v2, off, s[60:63], 0 offset:516
	buffer_load_dword v3, off, s[60:63], 0 offset:520
	;; [unrolled: 1-line block ×4, first 2 shown]
	s_waitcnt vmcnt(2)
	v_add_f64 v[28:29], v[2:3], v[28:29]
	v_add_f64 v[2:3], v[32:33], v[202:203]
	v_mul_f64 v[32:33], v[245:246], s[20:21]
	v_add_f64 v[28:29], v[28:29], v[50:51]
	v_mul_f64 v[50:51], v[48:49], s[34:35]
	s_waitcnt vmcnt(0)
	v_add_f64 v[32:33], v[32:33], -v[40:41]
	v_add_f64 v[40:41], v[76:77], v[78:79]
	s_clause 0x3
	buffer_load_dword v76, off, s[60:63], 0 offset:708
	buffer_load_dword v77, off, s[60:63], 0 offset:712
	;; [unrolled: 1-line block ×4, first 2 shown]
	v_mul_f64 v[48:49], v[48:49], s[18:19]
	v_add_f64 v[14:15], v[14:15], v[28:29]
	v_mul_f64 v[28:29], v[243:244], s[30:31]
	v_add_f64 v[32:33], v[32:33], v[40:41]
	;; [unrolled: 2-line block ×3, first 2 shown]
	s_waitcnt vmcnt(2)
	v_add_f64 v[46:47], v[46:47], -v[76:77]
	s_waitcnt vmcnt(0)
	v_add_f64 v[50:51], v[78:79], v[50:51]
	v_add_f64 v[78:79], v[84:85], v[86:87]
	s_clause 0x1
	buffer_load_dword v84, off, s[60:63], 0 offset:460
	buffer_load_dword v85, off, s[60:63], 0 offset:464
	v_add_f64 v[76:77], v[88:89], v[206:207]
	v_add_f64 v[50:51], v[50:51], v[78:79]
	v_mul_f64 v[78:79], v[20:21], s[30:31]
	v_add_f64 v[46:47], v[46:47], v[76:77]
	v_mul_f64 v[20:21], v[20:21], s[20:21]
	s_waitcnt vmcnt(0)
	v_add_f64 v[6:7], v[6:7], v[84:85]
	s_clause 0x3
	buffer_load_dword v84, off, s[60:63], 0 offset:964
	buffer_load_dword v85, off, s[60:63], 0 offset:968
	;; [unrolled: 1-line block ×4, first 2 shown]
	s_waitcnt vmcnt(2)
	v_add_f64 v[2:3], v[2:3], v[84:85]
	s_waitcnt vmcnt(0)
	v_add_f64 v[8:9], v[8:9], v[86:87]
	s_clause 0x3
	buffer_load_dword v86, off, s[60:63], 0 offset:692
	buffer_load_dword v87, off, s[60:63], 0 offset:696
	;; [unrolled: 1-line block ×4, first 2 shown]
	v_mul_f64 v[84:85], v[253:254], s[2:3]
	v_add_f64 v[84:85], v[84:85], -v[241:242]
	v_add_f64 v[8:9], v[84:85], v[8:9]
	s_waitcnt vmcnt(2)
	v_add_f64 v[40:41], v[40:41], -v[86:87]
	s_waitcnt vmcnt(0)
	v_add_f64 v[48:49], v[76:77], v[48:49]
	s_clause 0x1
	buffer_load_dword v76, off, s[60:63], 0 offset:684
	buffer_load_dword v77, off, s[60:63], 0 offset:688
	v_add_f64 v[40:41], v[40:41], v[46:47]
	v_add_f64 v[14:15], v[48:49], v[14:15]
	v_mul_f64 v[46:47], v[243:244], s[20:21]
	s_waitcnt vmcnt(0)
	v_add_f64 v[28:29], v[76:77], v[28:29]
	s_clause 0x1
	buffer_load_dword v76, off, s[60:63], 0 offset:436
	buffer_load_dword v77, off, s[60:63], 0 offset:440
	v_add_f64 v[28:29], v[28:29], v[50:51]
	v_mul_f64 v[50:51], v[42:43], s[20:21]
	s_waitcnt vmcnt(0)
	v_add_f64 v[6:7], v[6:7], v[76:77]
	s_clause 0x3
	buffer_load_dword v76, off, s[60:63], 0 offset:428
	buffer_load_dword v77, off, s[60:63], 0 offset:432
	;; [unrolled: 1-line block ×4, first 2 shown]
	s_waitcnt vmcnt(2)
	v_add_f64 v[2:3], v[2:3], v[76:77]
	s_waitcnt vmcnt(0)
	v_add_f64 v[78:79], v[78:79], -v[84:85]
	s_clause 0x3
	buffer_load_dword v84, off, s[60:63], 0 offset:580
	buffer_load_dword v85, off, s[60:63], 0 offset:584
	;; [unrolled: 1-line block ×4, first 2 shown]
	v_mul_f64 v[76:77], v[245:246], s[18:19]
	v_add_f64 v[76:77], v[76:77], -v[98:99]
	v_add_f64 v[8:9], v[76:77], v[8:9]
	s_waitcnt vmcnt(2)
	v_add_f64 v[46:47], v[84:85], v[46:47]
	s_waitcnt vmcnt(0)
	v_add_f64 v[20:21], v[20:21], -v[48:49]
	s_clause 0x1
	buffer_load_dword v48, off, s[60:63], 0 offset:868
	buffer_load_dword v49, off, s[60:63], 0 offset:872
	v_add_f64 v[14:15], v[46:47], v[14:15]
	v_fma_f64 v[46:47], v[42:43], s[18:19], -v[52:53]
	v_add_f64 v[8:9], v[20:21], v[8:9]
	v_add_f64 v[20:21], v[78:79], v[40:41]
	v_mul_f64 v[40:41], v[200:201], s[12:13]
	v_add_f64 v[22:23], v[46:47], v[22:23]
	s_waitcnt vmcnt(0)
	v_add_f64 v[6:7], v[6:7], v[48:49]
	s_clause 0x3
	buffer_load_dword v48, off, s[60:63], 0 offset:980
	buffer_load_dword v49, off, s[60:63], 0 offset:984
	;; [unrolled: 1-line block ×4, first 2 shown]
	s_waitcnt vmcnt(2)
	v_add_f64 v[2:3], v[2:3], v[48:49]
	v_add_f64 v[48:49], v[62:63], v[60:61]
	v_mul_f64 v[62:63], v[192:193], s[30:31]
	v_fma_f64 v[60:61], v[190:191], s[56:57], v[90:91]
	v_add_f64 v[4:5], v[4:5], v[48:49]
	s_waitcnt vmcnt(0)
	v_add_f64 v[62:63], v[70:71], v[62:63]
	s_clause 0x7
	buffer_load_dword v70, off, s[60:63], 0 offset:700
	buffer_load_dword v71, off, s[60:63], 0 offset:704
	;; [unrolled: 1-line block ×8, first 2 shown]
	v_add_f64 v[10:11], v[60:61], v[10:11]
	v_fma_f64 v[48:49], v[194:195], s[46:47], v[40:41]
	v_fma_f64 v[40:41], v[194:195], s[16:17], v[40:41]
	v_add_f64 v[48:49], v[48:49], v[72:73]
	v_add_f64 v[40:41], v[40:41], v[10:11]
	v_mul_f64 v[10:11], v[38:39], s[14:15]
	s_waitcnt vmcnt(6)
	v_add_f64 v[68:69], v[68:69], -v[70:71]
	v_mul_f64 v[70:71], v[192:193], s[12:13]
	v_add_f64 v[4:5], v[68:69], v[4:5]
	s_waitcnt vmcnt(4)
	v_add_f64 v[70:71], v[76:77], v[70:71]
	v_mul_f64 v[76:77], v[42:43], s[12:13]
	v_mul_f64 v[42:43], v[42:43], s[26:27]
	v_add_f64 v[58:59], v[70:71], v[58:59]
	s_waitcnt vmcnt(2)
	v_add_f64 v[76:77], v[76:77], -v[82:83]
	v_mul_f64 v[82:83], v[192:193], s[20:21]
	v_add_f64 v[32:33], v[76:77], v[32:33]
	s_waitcnt vmcnt(0)
	v_add_f64 v[82:83], v[84:85], v[82:83]
	s_clause 0x5
	buffer_load_dword v84, off, s[60:63], 0 offset:620
	buffer_load_dword v85, off, s[60:63], 0 offset:624
	;; [unrolled: 1-line block ×6, first 2 shown]
	v_add_f64 v[28:29], v[82:83], v[28:29]
	s_waitcnt vmcnt(4)
	v_add_f64 v[50:51], v[50:51], -v[84:85]
	v_mul_f64 v[84:85], v[192:193], s[26:27]
	s_waitcnt vmcnt(0)
	v_add_f64 v[42:43], v[42:43], -v[52:53]
	s_clause 0x1
	buffer_load_dword v52, off, s[60:63], 0 offset:948
	buffer_load_dword v53, off, s[60:63], 0 offset:952
	v_add_f64 v[20:21], v[50:51], v[20:21]
	v_add_f64 v[84:85], v[86:87], v[84:85]
	v_add_f64 v[8:9], v[42:43], v[8:9]
	v_add_f64 v[14:15], v[84:85], v[14:15]
	s_waitcnt vmcnt(0)
	v_add_f64 v[6:7], v[6:7], v[52:53]
	s_clause 0x5
	buffer_load_dword v52, off, s[60:63], 0 offset:956
	buffer_load_dword v53, off, s[60:63], 0 offset:960
	;; [unrolled: 1-line block ×6, first 2 shown]
	s_waitcnt vmcnt(4)
	v_add_f64 v[2:3], v[2:3], v[52:53]
	v_mul_f64 v[52:53], v[200:201], s[26:27]
	s_waitcnt vmcnt(2)
	v_add_f64 v[52:53], v[54:55], v[52:53]
	v_add_f64 v[54:55], v[62:63], v[56:57]
	s_clause 0xb
	buffer_load_dword v62, off, s[60:63], 0 offset:644
	buffer_load_dword v63, off, s[60:63], 0 offset:648
	;; [unrolled: 1-line block ×12, first 2 shown]
	v_mul_f64 v[56:57], v[30:31], s[26:27]
	v_add_f64 v[46:47], v[52:53], v[54:55]
	s_waitcnt vmcnt(12)
	v_add_f64 v[56:57], v[56:57], -v[60:61]
	v_mul_f64 v[60:61], v[200:201], s[18:19]
	v_add_f64 v[4:5], v[56:57], v[4:5]
	s_waitcnt vmcnt(10)
	v_add_f64 v[60:61], v[62:63], v[60:61]
	v_mul_f64 v[62:63], v[30:31], s[18:19]
	v_add_f64 v[54:55], v[60:61], v[58:59]
	s_waitcnt vmcnt(8)
	v_add_f64 v[62:63], v[62:63], -v[70:71]
	v_mul_f64 v[70:71], v[200:201], s[2:3]
	v_add_f64 v[62:63], v[62:63], v[32:33]
	s_waitcnt vmcnt(6)
	v_add_f64 v[70:71], v[78:79], v[70:71]
	v_mul_f64 v[78:79], v[30:31], s[2:3]
	v_add_f64 v[28:29], v[70:71], v[28:29]
	s_waitcnt vmcnt(4)
	v_add_f64 v[78:79], v[78:79], -v[80:81]
	v_mul_f64 v[80:81], v[200:201], s[30:31]
	v_add_f64 v[20:21], v[78:79], v[20:21]
	s_waitcnt vmcnt(2)
	v_add_f64 v[80:81], v[82:83], v[80:81]
	v_mul_f64 v[82:83], v[34:35], s[36:37]
	v_mul_f64 v[34:35], v[34:35], s[16:17]
	v_add_f64 v[76:77], v[80:81], v[14:15]
	v_fma_f64 v[84:85], v[30:31], s[34:35], v[82:83]
	v_fma_f64 v[82:83], v[30:31], s[34:35], -v[82:83]
	v_fma_f64 v[86:87], v[30:31], s[12:13], v[34:35]
	v_fma_f64 v[34:35], v[30:31], s[12:13], -v[34:35]
	v_mul_f64 v[30:31], v[30:31], s[30:31]
	v_add_f64 v[84:85], v[84:85], v[26:27]
	v_add_f64 v[44:45], v[82:83], v[44:45]
	;; [unrolled: 1-line block ×4, first 2 shown]
	s_waitcnt vmcnt(0)
	v_add_f64 v[30:31], v[30:31], -v[88:89]
	s_clause 0x1
	buffer_load_dword v88, off, s[60:63], 0 offset:924
	buffer_load_dword v89, off, s[60:63], 0 offset:928
	v_add_f64 v[8:9], v[30:31], v[8:9]
	v_mul_f64 v[30:31], v[16:17], s[28:29]
	v_fma_f64 v[82:83], v[0:1], s[26:27], -v[30:31]
	v_fma_f64 v[72:73], v[0:1], s[26:27], v[30:31]
	s_waitcnt vmcnt(0)
	v_add_f64 v[6:7], v[6:7], v[88:89]
	s_clause 0x11
	buffer_load_dword v88, off, s[60:63], 0 offset:900
	buffer_load_dword v89, off, s[60:63], 0 offset:904
	;; [unrolled: 1-line block ×18, first 2 shown]
	s_waitcnt vmcnt(16)
	v_add_f64 v[2:3], v[2:3], v[88:89]
	s_waitcnt vmcnt(14)
	v_add_f64 v[42:43], v[42:43], v[10:11]
	v_mul_f64 v[10:11], v[0:1], s[14:15]
	s_waitcnt vmcnt(12)
	v_add_f64 v[50:51], v[10:11], -v[50:51]
	v_mul_f64 v[10:11], v[38:39], s[30:31]
	s_waitcnt vmcnt(10)
	v_add_f64 v[52:53], v[52:53], v[10:11]
	v_mul_f64 v[10:11], v[0:1], s[30:31]
	v_add_f64 v[22:23], v[52:53], v[54:55]
	s_waitcnt vmcnt(8)
	v_add_f64 v[58:59], v[10:11], -v[58:59]
	v_mul_f64 v[10:11], v[38:39], s[12:13]
	s_waitcnt vmcnt(6)
	v_add_f64 v[60:61], v[60:61], v[10:11]
	v_mul_f64 v[10:11], v[0:1], s[12:13]
	v_add_f64 v[26:27], v[60:61], v[28:29]
	s_waitcnt vmcnt(4)
	v_add_f64 v[68:69], v[10:11], -v[68:69]
	v_mul_f64 v[10:11], v[38:39], s[34:35]
	v_add_f64 v[24:25], v[68:69], v[20:21]
	s_waitcnt vmcnt(2)
	v_add_f64 v[70:71], v[70:71], v[10:11]
	v_mul_f64 v[10:11], v[0:1], s[34:35]
	v_add_f64 v[20:21], v[58:59], v[62:63]
	v_add_f64 v[30:31], v[70:71], v[76:77]
	s_waitcnt vmcnt(0)
	v_add_f64 v[80:81], v[10:11], -v[14:15]
	s_clause 0x1
	buffer_load_dword v14, off, s[60:63], 0 offset:860
	buffer_load_dword v15, off, s[60:63], 0 offset:864
	v_mul_f64 v[10:11], v[38:39], s[20:21]
	v_add_f64 v[28:29], v[80:81], v[8:9]
	v_fma_f64 v[78:79], v[12:13], s[22:23], v[10:11]
	v_fma_f64 v[10:11], v[12:13], s[24:25], v[10:11]
	s_waitcnt vmcnt(0)
	v_add_f64 v[88:89], v[6:7], v[14:15]
	v_mul_f64 v[6:7], v[38:39], s[2:3]
	v_mul_f64 v[14:15], v[38:39], s[26:27]
	s_clause 0x1
	buffer_load_dword v38, off, s[60:63], 0 offset:908
	buffer_load_dword v39, off, s[60:63], 0 offset:912
	v_fma_f64 v[32:33], v[12:13], s[38:39], v[6:7]
	v_fma_f64 v[56:57], v[12:13], s[28:29], v[14:15]
	;; [unrolled: 1-line block ×4, first 2 shown]
	v_add_f64 v[6:7], v[10:11], v[164:165]
	v_add_f64 v[12:13], v[82:83], v[90:91]
	;; [unrolled: 1-line block ×5, first 2 shown]
	s_waitcnt vmcnt(0)
	v_add_f64 v[38:39], v[2:3], v[38:39]
	v_mul_f64 v[2:3], v[16:17], s[24:25]
	v_mul_f64 v[16:17], v[16:17], s[38:39]
	v_fma_f64 v[92:93], v[0:1], s[20:21], v[2:3]
	v_fma_f64 v[94:95], v[0:1], s[20:21], -v[2:3]
	v_fma_f64 v[96:97], v[0:1], s[2:3], -v[16:17]
	v_fma_f64 v[100:101], v[0:1], s[2:3], v[16:17]
	v_add_f64 v[2:3], v[78:79], v[18:19]
	v_mov_b32_e32 v79, v236
	s_clause 0x3
	buffer_load_dword v236, off, s[60:63], 0 offset:812
	buffer_load_dword v78, off, s[60:63], 0
	buffer_load_dword v0, off, s[60:63], 0 offset:844
	buffer_load_dword v1, off, s[60:63], 0 offset:848
	v_add_f64 v[18:19], v[42:43], v[46:47]
	v_add_f64 v[16:17], v[50:51], v[4:5]
	;; [unrolled: 1-line block ×6, first 2 shown]
	s_waitcnt vmcnt(2)
	v_lshl_add_u32 v44, v236, 4, v78
	s_waitcnt vmcnt(0)
	v_add_f64 v[34:35], v[88:89], v[0:1]
	s_clause 0x3
	buffer_load_dword v0, off, s[60:63], 0 offset:852
	buffer_load_dword v1, off, s[60:63], 0 offset:856
	;; [unrolled: 1-line block ×4, first 2 shown]
	s_waitcnt vmcnt(2)
	v_add_f64 v[32:33], v[38:39], v[0:1]
	v_add_f64 v[0:1], v[92:93], v[74:75]
	v_mov_b32_e32 v90, v247
	v_mov_b32_e32 v91, v248
	;; [unrolled: 1-line block ×56, first 2 shown]
	s_clause 0x3
	buffer_load_dword v104, off, s[60:63], 0 offset:828
	buffer_load_dword v105, off, s[60:63], 0 offset:832
	;; [unrolled: 1-line block ×4, first 2 shown]
	v_add_f64 v[38:39], v[98:99], v[66:67]
	ds_write_b128 v255, v[32:35]
	ds_write_b128 v44, v[28:31] offset:832
	ds_write_b128 v44, v[24:27] offset:1664
	;; [unrolled: 1-line block ×15, first 2 shown]
	s_waitcnt vmcnt(0)
	ds_write_b128 v44, v[104:107] offset:13312
.LBB0_9:
	s_or_b32 exec_lo, exec_lo, s1
	s_waitcnt lgkmcnt(0)
	s_waitcnt_vscnt null, 0x0
	s_barrier
	buffer_gl0_inv
	global_load_dwordx4 v[4:7], v[220:221], off offset:1856
	ds_read_b128 v[0:3], v255
	v_add_co_u32 v12, s1, 0x3740, v218
	v_add_co_ci_u32_e64 v13, s1, 0, v219, s1
	v_lshl_add_u32 v233, v236, 4, v78
	s_mov_b32 s20, 0x4267c47c
	s_mov_b32 s22, 0xe00740e9
	;; [unrolled: 1-line block ×36, first 2 shown]
	s_waitcnt vmcnt(0) lgkmcnt(0)
	v_mul_f64 v[8:9], v[2:3], v[6:7]
	v_fma_f64 v[8:9], v[0:1], v[4:5], -v[8:9]
	v_mul_f64 v[0:1], v[0:1], v[6:7]
	v_fma_f64 v[10:11], v[2:3], v[4:5], v[0:1]
	global_load_dwordx4 v[4:7], v[12:13], off offset:1088
	ds_read_b128 v[0:3], v255 offset:1088
	ds_write_b128 v255, v[8:11]
	s_waitcnt vmcnt(0) lgkmcnt(1)
	v_mul_f64 v[8:9], v[2:3], v[6:7]
	v_fma_f64 v[8:9], v[0:1], v[4:5], -v[8:9]
	v_mul_f64 v[0:1], v[0:1], v[6:7]
	v_fma_f64 v[10:11], v[2:3], v[4:5], v[0:1]
	v_add_co_u32 v4, s1, 0x3800, v218
	v_add_co_ci_u32_e64 v5, s1, 0, v219, s1
	ds_read_b128 v[0:3], v255 offset:2176
	global_load_dwordx4 v[4:7], v[4:5], off offset:1984
	ds_write_b128 v255, v[8:11] offset:1088
	s_waitcnt vmcnt(0) lgkmcnt(1)
	v_mul_f64 v[8:9], v[2:3], v[6:7]
	v_fma_f64 v[8:9], v[0:1], v[4:5], -v[8:9]
	v_mul_f64 v[0:1], v[0:1], v[6:7]
	v_fma_f64 v[10:11], v[2:3], v[4:5], v[0:1]
	v_add_co_u32 v4, s1, 0x4000, v218
	v_add_co_ci_u32_e64 v5, s1, 0, v219, s1
	ds_read_b128 v[0:3], v233 offset:3264
	v_add_co_u32 v12, s1, 0x4800, v218
	global_load_dwordx4 v[4:7], v[4:5], off offset:1024
	v_add_co_ci_u32_e64 v13, s1, 0, v219, s1
	ds_write_b128 v255, v[8:11] offset:2176
	s_waitcnt vmcnt(0) lgkmcnt(1)
	v_mul_f64 v[8:9], v[2:3], v[6:7]
	v_fma_f64 v[8:9], v[0:1], v[4:5], -v[8:9]
	v_mul_f64 v[0:1], v[0:1], v[6:7]
	v_fma_f64 v[10:11], v[2:3], v[4:5], v[0:1]
	global_load_dwordx4 v[4:7], v[12:13], off offset:64
	ds_read_b128 v[0:3], v255 offset:4352
	ds_write_b128 v233, v[8:11] offset:3264
	s_waitcnt vmcnt(0) lgkmcnt(1)
	v_mul_f64 v[8:9], v[2:3], v[6:7]
	v_fma_f64 v[8:9], v[0:1], v[4:5], -v[8:9]
	v_mul_f64 v[0:1], v[0:1], v[6:7]
	v_fma_f64 v[10:11], v[2:3], v[4:5], v[0:1]
	global_load_dwordx4 v[4:7], v[12:13], off offset:1152
	ds_read_b128 v[0:3], v255 offset:5440
	v_add_co_u32 v12, s1, 0x5000, v218
	v_add_co_ci_u32_e64 v13, s1, 0, v219, s1
	ds_write_b128 v255, v[8:11] offset:4352
	s_waitcnt vmcnt(0) lgkmcnt(1)
	v_mul_f64 v[8:9], v[2:3], v[6:7]
	v_fma_f64 v[8:9], v[0:1], v[4:5], -v[8:9]
	v_mul_f64 v[0:1], v[0:1], v[6:7]
	v_fma_f64 v[10:11], v[2:3], v[4:5], v[0:1]
	global_load_dwordx4 v[4:7], v[12:13], off offset:192
	ds_read_b128 v[0:3], v255 offset:6528
	ds_write_b128 v255, v[8:11] offset:5440
	s_waitcnt vmcnt(0) lgkmcnt(1)
	v_mul_f64 v[8:9], v[2:3], v[6:7]
	v_fma_f64 v[8:9], v[0:1], v[4:5], -v[8:9]
	v_mul_f64 v[0:1], v[0:1], v[6:7]
	v_fma_f64 v[10:11], v[2:3], v[4:5], v[0:1]
	global_load_dwordx4 v[4:7], v[12:13], off offset:1280
	ds_read_b128 v[0:3], v255 offset:7616
	v_add_co_u32 v12, s1, 0x5800, v218
	;; [unrolled: 18-line block ×3, first 2 shown]
	v_add_co_ci_u32_e64 v13, s1, 0, v219, s1
	ds_write_b128 v255, v[8:11] offset:8704
	s_waitcnt vmcnt(0) lgkmcnt(1)
	v_mul_f64 v[8:9], v[2:3], v[6:7]
	v_fma_f64 v[8:9], v[0:1], v[4:5], -v[8:9]
	v_mul_f64 v[0:1], v[0:1], v[6:7]
	v_fma_f64 v[10:11], v[2:3], v[4:5], v[0:1]
	global_load_dwordx4 v[4:7], v[12:13], off offset:448
	ds_read_b128 v[0:3], v255 offset:10880
	ds_write_b128 v255, v[8:11] offset:9792
	s_waitcnt vmcnt(0) lgkmcnt(1)
	v_mul_f64 v[8:9], v[2:3], v[6:7]
	v_fma_f64 v[8:9], v[0:1], v[4:5], -v[8:9]
	v_mul_f64 v[0:1], v[0:1], v[6:7]
	v_fma_f64 v[10:11], v[2:3], v[4:5], v[0:1]
	global_load_dwordx4 v[4:7], v[12:13], off offset:1536
	ds_read_b128 v[0:3], v255 offset:11968
	ds_write_b128 v255, v[8:11] offset:10880
	s_waitcnt vmcnt(0) lgkmcnt(1)
	v_mul_f64 v[8:9], v[2:3], v[6:7]
	v_fma_f64 v[8:9], v[0:1], v[4:5], -v[8:9]
	v_mul_f64 v[0:1], v[0:1], v[6:7]
	v_fma_f64 v[10:11], v[2:3], v[4:5], v[0:1]
	v_add_co_u32 v4, s1, 0x6800, v218
	v_add_co_ci_u32_e64 v5, s1, 0, v219, s1
	ds_read_b128 v[0:3], v255 offset:13056
	global_load_dwordx4 v[4:7], v[4:5], off offset:576
	ds_write_b128 v255, v[8:11] offset:11968
	s_waitcnt vmcnt(0) lgkmcnt(1)
	v_mul_f64 v[8:9], v[2:3], v[6:7]
	v_fma_f64 v[8:9], v[0:1], v[4:5], -v[8:9]
	v_mul_f64 v[0:1], v[0:1], v[6:7]
	v_fma_f64 v[10:11], v[2:3], v[4:5], v[0:1]
	ds_write_b128 v255, v[8:11] offset:13056
	s_waitcnt lgkmcnt(0)
	s_barrier
	buffer_gl0_inv
	ds_read_b128 v[224:227], v255
	ds_read_b128 v[6:9], v255 offset:1088
	ds_read_b128 v[216:219], v255 offset:2176
	;; [unrolled: 1-line block ×12, first 2 shown]
	s_waitcnt lgkmcnt(0)
	s_barrier
	buffer_gl0_inv
	v_add_f64 v[0:1], v[224:225], v[6:7]
	v_add_f64 v[2:3], v[226:227], v[8:9]
	;; [unrolled: 1-line block ×3, first 2 shown]
	v_add_f64 v[76:77], v[192:193], -v[196:197]
	v_add_f64 v[54:55], v[218:219], -v[222:223]
	v_add_f64 v[4:5], v[8:9], v[12:13]
	v_add_f64 v[52:53], v[216:217], -v[220:221]
	v_add_f64 v[0:1], v[0:1], v[216:217]
	v_add_f64 v[2:3], v[2:3], v[218:219]
	v_mul_f64 v[56:57], v[54:55], s[14:15]
	v_mul_f64 v[20:21], v[4:5], s[16:17]
	;; [unrolled: 1-line block ×5, first 2 shown]
	v_add_f64 v[0:1], v[0:1], v[208:209]
	v_add_f64 v[2:3], v[2:3], v[210:211]
	;; [unrolled: 1-line block ×21, first 2 shown]
	v_add_f64 v[2:3], v[6:7], -v[10:11]
	v_add_f64 v[6:7], v[8:9], -v[12:13]
	v_mul_f64 v[12:13], v[4:5], s[22:23]
	v_mul_f64 v[4:5], v[4:5], s[42:43]
	v_fma_f64 v[22:23], v[2:3], s[18:19], v[20:21]
	v_mul_f64 v[8:9], v[6:7], s[20:21]
	v_fma_f64 v[14:15], v[2:3], s[24:25], v[12:13]
	v_fma_f64 v[12:13], v[2:3], s[20:21], v[12:13]
	v_mul_f64 v[16:17], v[6:7], s[14:15]
	v_fma_f64 v[20:21], v[2:3], s[14:15], v[20:21]
	v_mul_f64 v[24:25], v[6:7], s[12:13]
	v_fma_f64 v[30:31], v[2:3], s[2:3], v[28:29]
	v_fma_f64 v[28:29], v[2:3], s[12:13], v[28:29]
	v_mul_f64 v[32:33], v[6:7], s[26:27]
	v_fma_f64 v[38:39], v[2:3], s[30:31], v[36:37]
	;; [unrolled: 3-line block ×4, first 2 shown]
	v_fma_f64 v[2:3], v[2:3], s[40:41], v[4:5]
	v_add_f64 v[4:5], v[216:217], v[220:221]
	v_add_f64 v[22:23], v[226:227], v[22:23]
	v_fma_f64 v[10:11], v[0:1], s[22:23], v[8:9]
	v_fma_f64 v[8:9], v[0:1], s[22:23], -v[8:9]
	v_add_f64 v[12:13], v[226:227], v[12:13]
	v_fma_f64 v[18:19], v[0:1], s[16:17], v[16:17]
	v_fma_f64 v[16:17], v[0:1], s[16:17], -v[16:17]
	v_fma_f64 v[26:27], v[0:1], s[6:7], v[24:25]
	v_fma_f64 v[24:25], v[0:1], s[6:7], -v[24:25]
	v_add_f64 v[20:21], v[226:227], v[20:21]
	v_fma_f64 v[34:35], v[0:1], s[28:29], v[32:33]
	v_fma_f64 v[32:33], v[0:1], s[28:29], -v[32:33]
	v_add_f64 v[14:15], v[226:227], v[14:15]
	;; [unrolled: 3-line block ×5, first 2 shown]
	v_add_f64 v[30:31], v[226:227], v[30:31]
	v_add_f64 v[44:45], v[226:227], v[44:45]
	;; [unrolled: 1-line block ×19, first 2 shown]
	v_mul_f64 v[58:59], v[6:7], s[16:17]
	v_add_f64 v[8:9], v[56:57], v[8:9]
	v_fma_f64 v[56:57], v[52:53], s[14:15], v[58:59]
	v_fma_f64 v[60:61], v[52:53], s[18:19], v[58:59]
	v_add_f64 v[12:13], v[56:57], v[12:13]
	v_mul_f64 v[56:57], v[54:55], s[26:27]
	v_add_f64 v[14:15], v[60:61], v[14:15]
	v_fma_f64 v[58:59], v[4:5], s[28:29], v[56:57]
	v_fma_f64 v[56:57], v[4:5], s[28:29], -v[56:57]
	v_add_f64 v[18:19], v[58:59], v[18:19]
	v_mul_f64 v[58:59], v[6:7], s[28:29]
	v_add_f64 v[16:17], v[56:57], v[16:17]
	v_fma_f64 v[56:57], v[52:53], s[26:27], v[58:59]
	v_fma_f64 v[60:61], v[52:53], s[30:31], v[58:59]
	v_add_f64 v[20:21], v[56:57], v[20:21]
	v_mul_f64 v[56:57], v[54:55], s[40:41]
	v_add_f64 v[22:23], v[60:61], v[22:23]
	v_fma_f64 v[58:59], v[4:5], s[42:43], v[56:57]
	v_fma_f64 v[56:57], v[4:5], s[42:43], -v[56:57]
	v_add_f64 v[26:27], v[58:59], v[26:27]
	;; [unrolled: 10-line block ×3, first 2 shown]
	v_mul_f64 v[58:59], v[6:7], s[36:37]
	v_add_f64 v[32:33], v[56:57], v[32:33]
	v_fma_f64 v[56:57], v[52:53], s[38:39], v[58:59]
	v_fma_f64 v[60:61], v[52:53], s[34:35], v[58:59]
	v_add_f64 v[36:37], v[56:57], v[36:37]
	v_mul_f64 v[56:57], v[54:55], s[2:3]
	v_mul_f64 v[54:55], v[54:55], s[24:25]
	v_add_f64 v[38:39], v[60:61], v[38:39]
	v_fma_f64 v[58:59], v[4:5], s[6:7], v[56:57]
	v_fma_f64 v[56:57], v[4:5], s[6:7], -v[56:57]
	v_add_f64 v[42:43], v[58:59], v[42:43]
	v_mul_f64 v[58:59], v[6:7], s[6:7]
	v_add_f64 v[40:41], v[56:57], v[40:41]
	v_mul_f64 v[6:7], v[6:7], s[22:23]
	v_fma_f64 v[56:57], v[52:53], s[2:3], v[58:59]
	v_fma_f64 v[60:61], v[52:53], s[12:13], v[58:59]
	v_add_f64 v[44:45], v[56:57], v[44:45]
	v_fma_f64 v[56:57], v[4:5], s[22:23], v[54:55]
	v_fma_f64 v[4:5], v[4:5], s[22:23], -v[54:55]
	v_add_f64 v[54:55], v[210:211], -v[214:215]
	v_add_f64 v[46:47], v[60:61], v[46:47]
	v_add_f64 v[48:49], v[56:57], v[48:49]
	v_fma_f64 v[56:57], v[52:53], s[20:21], v[6:7]
	v_add_f64 v[0:1], v[4:5], v[0:1]
	v_fma_f64 v[4:5], v[52:53], s[24:25], v[6:7]
	v_add_f64 v[6:7], v[210:211], v[214:215]
	v_add_f64 v[52:53], v[208:209], -v[212:213]
	v_add_f64 v[50:51], v[56:57], v[50:51]
	v_mul_f64 v[56:57], v[54:55], s[12:13]
	v_add_f64 v[2:3], v[4:5], v[2:3]
	v_add_f64 v[4:5], v[208:209], v[212:213]
	v_fma_f64 v[58:59], v[4:5], s[6:7], v[56:57]
	v_fma_f64 v[56:57], v[4:5], s[6:7], -v[56:57]
	v_add_f64 v[10:11], v[58:59], v[10:11]
	v_mul_f64 v[58:59], v[6:7], s[6:7]
	v_add_f64 v[8:9], v[56:57], v[8:9]
	v_fma_f64 v[56:57], v[52:53], s[12:13], v[58:59]
	v_fma_f64 v[60:61], v[52:53], s[2:3], v[58:59]
	v_add_f64 v[12:13], v[56:57], v[12:13]
	v_mul_f64 v[56:57], v[54:55], s[40:41]
	v_add_f64 v[14:15], v[60:61], v[14:15]
	v_fma_f64 v[58:59], v[4:5], s[42:43], v[56:57]
	v_fma_f64 v[56:57], v[4:5], s[42:43], -v[56:57]
	v_add_f64 v[18:19], v[58:59], v[18:19]
	v_mul_f64 v[58:59], v[6:7], s[42:43]
	v_add_f64 v[16:17], v[56:57], v[16:17]
	v_fma_f64 v[56:57], v[52:53], s[40:41], v[58:59]
	v_fma_f64 v[60:61], v[52:53], s[44:45], v[58:59]
	v_add_f64 v[20:21], v[56:57], v[20:21]
	v_mul_f64 v[56:57], v[54:55], s[30:31]
	;; [unrolled: 10-line block ×4, first 2 shown]
	v_mul_f64 v[54:55], v[54:55], s[34:35]
	v_add_f64 v[38:39], v[60:61], v[38:39]
	v_fma_f64 v[58:59], v[4:5], s[16:17], v[56:57]
	v_fma_f64 v[56:57], v[4:5], s[16:17], -v[56:57]
	v_add_f64 v[42:43], v[58:59], v[42:43]
	v_mul_f64 v[58:59], v[6:7], s[16:17]
	v_add_f64 v[40:41], v[56:57], v[40:41]
	v_mul_f64 v[6:7], v[6:7], s[36:37]
	v_fma_f64 v[56:57], v[52:53], s[14:15], v[58:59]
	v_fma_f64 v[60:61], v[52:53], s[18:19], v[58:59]
	v_add_f64 v[44:45], v[56:57], v[44:45]
	v_fma_f64 v[56:57], v[4:5], s[36:37], v[54:55]
	v_fma_f64 v[4:5], v[4:5], s[36:37], -v[54:55]
	v_add_f64 v[54:55], v[202:203], -v[206:207]
	v_add_f64 v[46:47], v[60:61], v[46:47]
	v_add_f64 v[48:49], v[56:57], v[48:49]
	v_fma_f64 v[56:57], v[52:53], s[38:39], v[6:7]
	v_add_f64 v[0:1], v[4:5], v[0:1]
	v_fma_f64 v[4:5], v[52:53], s[34:35], v[6:7]
	v_add_f64 v[6:7], v[202:203], v[206:207]
	v_add_f64 v[52:53], v[200:201], -v[204:205]
	v_add_f64 v[50:51], v[56:57], v[50:51]
	v_mul_f64 v[56:57], v[54:55], s[26:27]
	v_add_f64 v[2:3], v[4:5], v[2:3]
	v_add_f64 v[4:5], v[200:201], v[204:205]
	v_fma_f64 v[58:59], v[4:5], s[28:29], v[56:57]
	v_fma_f64 v[56:57], v[4:5], s[28:29], -v[56:57]
	v_add_f64 v[10:11], v[58:59], v[10:11]
	v_mul_f64 v[58:59], v[6:7], s[28:29]
	v_add_f64 v[8:9], v[56:57], v[8:9]
	v_fma_f64 v[56:57], v[52:53], s[26:27], v[58:59]
	v_fma_f64 v[60:61], v[52:53], s[30:31], v[58:59]
	v_add_f64 v[12:13], v[56:57], v[12:13]
	v_mul_f64 v[56:57], v[54:55], s[38:39]
	v_add_f64 v[14:15], v[60:61], v[14:15]
	v_fma_f64 v[58:59], v[4:5], s[36:37], v[56:57]
	v_fma_f64 v[56:57], v[4:5], s[36:37], -v[56:57]
	v_add_f64 v[18:19], v[58:59], v[18:19]
	v_mul_f64 v[58:59], v[6:7], s[36:37]
	v_add_f64 v[16:17], v[56:57], v[16:17]
	v_fma_f64 v[56:57], v[52:53], s[38:39], v[58:59]
	v_fma_f64 v[60:61], v[52:53], s[34:35], v[58:59]
	v_add_f64 v[20:21], v[56:57], v[20:21]
	v_mul_f64 v[56:57], v[54:55], s[24:25]
	;; [unrolled: 10-line block ×4, first 2 shown]
	v_add_f64 v[62:63], v[34:35], v[38:39]
	v_fma_f64 v[28:29], v[4:5], s[42:43], v[24:25]
	v_fma_f64 v[24:25], v[4:5], s[42:43], -v[24:25]
	v_add_f64 v[42:43], v[28:29], v[42:43]
	v_mul_f64 v[28:29], v[6:7], s[42:43]
	v_add_f64 v[40:41], v[24:25], v[40:41]
	v_mul_f64 v[6:7], v[6:7], s[16:17]
	v_fma_f64 v[24:25], v[52:53], s[44:45], v[28:29]
	v_fma_f64 v[32:33], v[52:53], s[40:41], v[28:29]
	v_add_f64 v[70:71], v[24:25], v[44:45]
	v_mul_f64 v[24:25], v[54:55], s[18:19]
	v_add_f64 v[68:69], v[32:33], v[46:47]
	v_fma_f64 v[28:29], v[4:5], s[16:17], v[24:25]
	v_fma_f64 v[4:5], v[4:5], s[16:17], -v[24:25]
	v_add_f64 v[54:55], v[28:29], v[48:49]
	v_add_f64 v[0:1], v[4:5], v[0:1]
	v_fma_f64 v[4:5], v[52:53], s[18:19], v[6:7]
	v_fma_f64 v[28:29], v[52:53], s[14:15], v[6:7]
	v_add_f64 v[52:53], v[4:5], v[2:3]
	v_add_f64 v[2:3], v[194:195], -v[198:199]
	v_add_f64 v[4:5], v[194:195], v[198:199]
	v_add_f64 v[72:73], v[28:29], v[50:51]
	v_mul_f64 v[6:7], v[2:3], s[34:35]
	v_fma_f64 v[24:25], v[74:75], s[36:37], v[6:7]
	v_fma_f64 v[6:7], v[74:75], s[36:37], -v[6:7]
	v_add_f64 v[44:45], v[24:25], v[10:11]
	v_mul_f64 v[10:11], v[4:5], s[36:37]
	v_add_f64 v[48:49], v[6:7], v[8:9]
	v_fma_f64 v[6:7], v[76:77], s[34:35], v[10:11]
	v_fma_f64 v[24:25], v[76:77], s[38:39], v[10:11]
	v_add_f64 v[50:51], v[6:7], v[12:13]
	v_mul_f64 v[6:7], v[2:3], s[2:3]
	v_add_f64 v[46:47], v[24:25], v[14:15]
	v_mul_f64 v[12:13], v[4:5], s[22:23]
	v_fma_f64 v[8:9], v[74:75], s[6:7], v[6:7]
	v_fma_f64 v[6:7], v[74:75], s[6:7], -v[6:7]
	v_add_f64 v[32:33], v[8:9], v[18:19]
	v_mul_f64 v[8:9], v[4:5], s[6:7]
	v_add_f64 v[36:37], v[6:7], v[16:17]
	v_fma_f64 v[6:7], v[76:77], s[2:3], v[8:9]
	v_fma_f64 v[10:11], v[76:77], s[12:13], v[8:9]
	v_add_f64 v[38:39], v[6:7], v[20:21]
	v_mul_f64 v[6:7], v[2:3], s[14:15]
	v_add_f64 v[34:35], v[10:11], v[22:23]
	v_mul_f64 v[22:23], v[2:3], s[26:27]
	v_fma_f64 v[8:9], v[74:75], s[16:17], v[6:7]
	v_fma_f64 v[6:7], v[74:75], s[16:17], -v[6:7]
	v_add_f64 v[24:25], v[8:9], v[26:27]
	v_mul_f64 v[8:9], v[4:5], s[16:17]
	v_add_f64 v[28:29], v[6:7], v[56:57]
	v_fma_f64 v[10:11], v[76:77], s[18:19], v[8:9]
	v_fma_f64 v[6:7], v[76:77], s[14:15], v[8:9]
	v_add_f64 v[26:27], v[10:11], v[30:31]
	v_add_f64 v[30:31], v[6:7], v[58:59]
	v_mul_f64 v[6:7], v[2:3], s[44:45]
	v_fma_f64 v[8:9], v[74:75], s[42:43], v[6:7]
	v_fma_f64 v[6:7], v[74:75], s[42:43], -v[6:7]
	v_add_f64 v[14:15], v[8:9], v[60:61]
	v_mul_f64 v[8:9], v[4:5], s[42:43]
	v_add_f64 v[18:19], v[6:7], v[64:65]
	v_fma_f64 v[10:11], v[76:77], s[40:41], v[8:9]
	v_fma_f64 v[6:7], v[76:77], s[44:45], v[8:9]
	;; [unrolled: 1-line block ×4, first 2 shown]
	v_add_f64 v[16:17], v[10:11], v[62:63]
	v_mul_f64 v[10:11], v[2:3], s[24:25]
	v_add_f64 v[20:21], v[6:7], v[66:67]
	v_fma_f64 v[2:3], v[74:75], s[28:29], v[22:23]
	v_fma_f64 v[22:23], v[74:75], s[28:29], -v[22:23]
	v_add_f64 v[8:9], v[8:9], v[68:69]
	v_add_f64 v[12:13], v[12:13], v[70:71]
	v_fma_f64 v[6:7], v[74:75], s[22:23], v[10:11]
	v_fma_f64 v[10:11], v[74:75], s[22:23], -v[10:11]
	v_add_f64 v[2:3], v[2:3], v[54:55]
	v_add_f64 v[0:1], v[22:23], v[0:1]
	;; [unrolled: 1-line block ×4, first 2 shown]
	v_mul_f64 v[40:41], v[4:5], s[28:29]
	v_add_f64 v[42:43], v[186:187], v[190:191]
	v_fma_f64 v[22:23], v[76:77], s[26:27], v[40:41]
	v_fma_f64 v[4:5], v[76:77], s[30:31], v[40:41]
	v_add_f64 v[40:41], v[184:185], v[188:189]
	v_add_f64 v[224:225], v[22:23], v[52:53]
	v_add_f64 v[52:53], v[186:187], -v[190:191]
	v_add_f64 v[22:23], v[184:185], -v[188:189]
	v_add_f64 v[4:5], v[4:5], v[72:73]
	v_mul_f64 v[54:55], v[52:53], s[40:41]
	v_fma_f64 v[56:57], v[40:41], s[42:43], v[54:55]
	v_add_f64 v[192:193], v[56:57], v[44:45]
	v_mul_f64 v[44:45], v[42:43], s[42:43]
	v_fma_f64 v[56:57], v[22:23], s[44:45], v[44:45]
	v_fma_f64 v[44:45], v[22:23], s[40:41], v[44:45]
	v_add_f64 v[194:195], v[56:57], v[46:47]
	v_fma_f64 v[46:47], v[40:41], s[42:43], -v[54:55]
	v_add_f64 v[186:187], v[44:45], v[50:51]
	v_mul_f64 v[44:45], v[52:53], s[24:25]
	v_add_f64 v[184:185], v[46:47], v[48:49]
	v_fma_f64 v[46:47], v[40:41], s[22:23], v[44:45]
	v_add_f64 v[196:197], v[46:47], v[32:33]
	v_mul_f64 v[32:33], v[42:43], s[22:23]
	v_fma_f64 v[46:47], v[22:23], s[20:21], v[32:33]
	v_fma_f64 v[32:33], v[22:23], s[24:25], v[32:33]
	v_add_f64 v[198:199], v[46:47], v[34:35]
	v_fma_f64 v[34:35], v[40:41], s[22:23], -v[44:45]
	v_add_f64 v[190:191], v[32:33], v[38:39]
	v_mul_f64 v[32:33], v[52:53], s[34:35]
	v_add_f64 v[188:189], v[34:35], v[36:37]
	;; [unrolled: 10-line block ×5, first 2 shown]
	v_fma_f64 v[8:9], v[40:41], s[6:7], v[6:7]
	v_fma_f64 v[6:7], v[40:41], s[6:7], -v[6:7]
	v_add_f64 v[2:3], v[8:9], v[2:3]
	v_mul_f64 v[8:9], v[42:43], s[6:7]
	v_add_f64 v[6:7], v[6:7], v[0:1]
	v_fma_f64 v[10:11], v[22:23], s[12:13], v[8:9]
	v_fma_f64 v[0:1], v[22:23], s[2:3], v[8:9]
	v_add_f64 v[4:5], v[10:11], v[4:5]
	v_add_f64 v[8:9], v[0:1], v[224:225]
	ds_write_b128 v232, v[180:183]
	ds_write_b128 v232, v[192:195] offset:16
	ds_write_b128 v232, v[196:199] offset:32
	;; [unrolled: 1-line block ×12, first 2 shown]
	s_waitcnt lgkmcnt(0)
	s_barrier
	buffer_gl0_inv
	ds_read_b128 v[192:195], v255
	ds_read_b128 v[228:231], v255 offset:3536
	ds_read_b128 v[224:227], v255 offset:7072
	;; [unrolled: 1-line block ×11, first 2 shown]
	s_and_saveexec_b32 s1, vcc_lo
	s_cbranch_execz .LBB0_11
; %bb.10:
	ds_read_b128 v[176:179], v255 offset:6800
	ds_read_b128 v[172:175], v255 offset:10336
	;; [unrolled: 1-line block ×4, first 2 shown]
.LBB0_11:
	s_or_b32 exec_lo, exec_lo, s1
	s_waitcnt lgkmcnt(10)
	v_mul_f64 v[0:1], v[162:163], v[230:231]
	v_mul_f64 v[2:3], v[162:163], v[228:229]
	s_waitcnt lgkmcnt(9)
	v_mul_f64 v[4:5], v[158:159], v[226:227]
	v_mul_f64 v[6:7], v[158:159], v[224:225]
	s_waitcnt lgkmcnt(8)
	v_mul_f64 v[8:9], v[150:151], v[222:223]
	v_mul_f64 v[10:11], v[150:151], v[220:221]
	s_waitcnt lgkmcnt(6)
	v_mul_f64 v[12:13], v[154:155], v[218:219]
	v_mul_f64 v[14:15], v[154:155], v[216:217]
	s_waitcnt lgkmcnt(5)
	v_mul_f64 v[16:17], v[146:147], v[214:215]
	v_mul_f64 v[18:19], v[146:147], v[212:213]
	s_waitcnt lgkmcnt(4)
	v_mul_f64 v[20:21], v[142:143], v[210:211]
	v_mul_f64 v[22:23], v[142:143], v[208:209]
	s_waitcnt lgkmcnt(2)
	v_mul_f64 v[24:25], v[138:139], v[206:207]
	v_mul_f64 v[26:27], v[138:139], v[204:205]
	s_waitcnt lgkmcnt(1)
	v_mul_f64 v[28:29], v[134:135], v[202:203]
	v_mul_f64 v[30:31], v[134:135], v[200:201]
	s_waitcnt lgkmcnt(0)
	v_mul_f64 v[32:33], v[130:131], v[198:199]
	v_mul_f64 v[34:35], v[130:131], v[196:197]
	v_mul_f64 v[40:41], v[122:123], v[174:175]
	v_mul_f64 v[42:43], v[122:123], v[172:173]
	;; [unrolled: 1-line block ×4, first 2 shown]
	v_fma_f64 v[0:1], v[160:161], v[228:229], v[0:1]
	v_fma_f64 v[2:3], v[160:161], v[230:231], -v[2:3]
	v_fma_f64 v[4:5], v[156:157], v[224:225], v[4:5]
	v_fma_f64 v[6:7], v[156:157], v[226:227], -v[6:7]
	;; [unrolled: 2-line block ×11, first 2 shown]
	v_mul_f64 v[44:45], v[114:115], v[170:171]
	v_mul_f64 v[46:47], v[114:115], v[168:169]
	v_add_f64 v[4:5], v[192:193], -v[4:5]
	v_add_f64 v[6:7], v[194:195], -v[6:7]
	;; [unrolled: 1-line block ×4, first 2 shown]
	s_barrier
	buffer_gl0_inv
	v_fma_f64 v[44:45], v[112:113], v[168:169], v[44:45]
	v_fma_f64 v[46:47], v[112:113], v[170:171], -v[46:47]
	v_fma_f64 v[48:49], v[192:193], 2.0, -v[4:5]
	v_fma_f64 v[50:51], v[194:195], 2.0, -v[6:7]
	;; [unrolled: 1-line block ×4, first 2 shown]
	v_add_f64 v[148:149], v[4:5], v[10:11]
	v_add_f64 v[150:151], v[6:7], -v[8:9]
	v_add_f64 v[8:9], v[12:13], -v[20:21]
	;; [unrolled: 1-line block ×7, first 2 shown]
	v_fma_f64 v[160:161], v[4:5], 2.0, -v[148:149]
	v_fma_f64 v[162:163], v[6:7], 2.0, -v[150:151]
	;; [unrolled: 1-line block ×8, first 2 shown]
	v_add_f64 v[120:121], v[0:1], v[10:11]
	v_add_f64 v[122:123], v[2:3], -v[8:9]
	v_add_f64 v[8:9], v[24:25], -v[32:33]
	;; [unrolled: 1-line block ×5, first 2 shown]
	v_fma_f64 v[140:141], v[0:1], 2.0, -v[120:121]
	v_fma_f64 v[142:143], v[2:3], 2.0, -v[122:123]
	v_add_f64 v[0:1], v[180:181], -v[28:29]
	v_add_f64 v[2:3], v[182:183], -v[30:31]
	v_fma_f64 v[12:13], v[24:25], 2.0, -v[8:9]
	v_fma_f64 v[14:15], v[26:27], 2.0, -v[10:11]
	v_fma_f64 v[144:145], v[4:5], 2.0, -v[124:125]
	v_fma_f64 v[146:147], v[6:7], 2.0, -v[126:127]
	v_fma_f64 v[4:5], v[180:181], 2.0, -v[0:1]
	v_fma_f64 v[6:7], v[182:183], 2.0, -v[2:3]
	v_add_f64 v[152:153], v[0:1], v[10:11]
	v_add_f64 v[154:155], v[2:3], -v[8:9]
	v_add_f64 v[8:9], v[36:37], -v[44:45]
	;; [unrolled: 1-line block ×5, first 2 shown]
	v_fma_f64 v[128:129], v[0:1], 2.0, -v[152:153]
	v_fma_f64 v[130:131], v[2:3], 2.0, -v[154:155]
	v_add_f64 v[0:1], v[184:185], -v[40:41]
	v_add_f64 v[2:3], v[186:187], -v[42:43]
	v_fma_f64 v[12:13], v[36:37], 2.0, -v[8:9]
	v_fma_f64 v[14:15], v[38:39], 2.0, -v[10:11]
	;; [unrolled: 1-line block ×4, first 2 shown]
	ds_write_b128 v83, v[112:115]
	ds_write_b128 v83, v[160:163] offset:208
	ds_write_b128 v83, v[156:159] offset:416
	ds_write_b128 v83, v[148:151] offset:624
	ds_write_b128 v82, v[144:147]
	ds_write_b128 v82, v[140:143] offset:208
	ds_write_b128 v82, v[124:127] offset:416
	ds_write_b128 v82, v[120:123] offset:624
	;; [unrolled: 4-line block ×3, first 2 shown]
	v_fma_f64 v[4:5], v[184:185], 2.0, -v[0:1]
	v_fma_f64 v[6:7], v[186:187], 2.0, -v[2:3]
	v_add_f64 v[180:181], v[0:1], v[10:11]
	v_add_f64 v[182:183], v[2:3], -v[8:9]
	v_add_f64 v[176:177], v[4:5], -v[12:13]
	v_add_f64 v[178:179], v[6:7], -v[14:15]
	v_fma_f64 v[172:173], v[0:1], 2.0, -v[180:181]
	v_fma_f64 v[174:175], v[2:3], 2.0, -v[182:183]
	;; [unrolled: 1-line block ×4, first 2 shown]
	s_and_saveexec_b32 s1, vcc_lo
	s_cbranch_execz .LBB0_13
; %bb.12:
	s_clause 0x1
	buffer_load_dword v0, off, s[60:63], 0 offset:196
	buffer_load_dword v1, off, s[60:63], 0 offset:200
	s_waitcnt vmcnt(0)
	v_mad_u16 v0, v0, 52, v1
	v_and_b32_e32 v0, 0xffff, v0
	v_lshl_add_u32 v0, v0, 4, v78
	ds_write_b128 v0, v[168:171]
	ds_write_b128 v0, v[172:175] offset:208
	ds_write_b128 v0, v[176:179] offset:416
	;; [unrolled: 1-line block ×3, first 2 shown]
.LBB0_13:
	s_or_b32 exec_lo, exec_lo, s1
	s_waitcnt lgkmcnt(0)
	s_barrier
	buffer_gl0_inv
	s_and_saveexec_b32 s1, s0
	s_cbranch_execz .LBB0_15
; %bb.14:
	ds_read_b128 v[112:115], v255
	ds_read_b128 v[160:163], v255 offset:832
	ds_read_b128 v[156:159], v255 offset:1664
	ds_read_b128 v[148:151], v255 offset:2496
	ds_read_b128 v[144:147], v255 offset:3328
	ds_read_b128 v[140:143], v255 offset:4160
	ds_read_b128 v[124:127], v255 offset:4992
	ds_read_b128 v[120:123], v255 offset:5824
	ds_read_b128 v[132:135], v255 offset:6656
	ds_read_b128 v[128:131], v255 offset:7488
	ds_read_b128 v[136:139], v255 offset:8320
	ds_read_b128 v[152:155], v255 offset:9152
	ds_read_b128 v[168:171], v255 offset:9984
	ds_read_b128 v[172:175], v255 offset:10816
	ds_read_b128 v[176:179], v255 offset:11648
	ds_read_b128 v[180:183], v255 offset:12480
	ds_read_b128 v[104:107], v255 offset:13312
.LBB0_15:
	s_or_b32 exec_lo, exec_lo, s1
	s_and_saveexec_b32 s33, s0
	s_cbranch_execz .LBB0_17
; %bb.16:
	s_clause 0x3
	buffer_load_dword v2, off, s[60:63], 0 offset:348
	buffer_load_dword v3, off, s[60:63], 0 offset:352
	;; [unrolled: 1-line block ×4, first 2 shown]
	s_waitcnt lgkmcnt(15)
	v_mul_f64 v[0:1], v[249:250], v[162:163]
	s_mov_b32 s2, 0xacd6c6b4
	s_mov_b32 s3, 0xbfc7851a
	;; [unrolled: 1-line block ×21, first 2 shown]
	v_fma_f64 v[184:185], v[247:248], v[160:161], v[0:1]
	v_mul_f64 v[0:1], v[249:250], v[160:161]
	s_mov_b32 s29, 0x3feca52d
	s_mov_b32 s24, 0x2b2883cd
	;; [unrolled: 1-line block ×21, first 2 shown]
	v_fma_f64 v[162:163], v[247:248], v[162:163], -v[0:1]
	s_waitcnt lgkmcnt(0)
	v_mul_f64 v[0:1], v[92:93], v[106:107]
	s_mov_b32 s51, 0xbfeca52d
	s_mov_b32 s50, s28
	s_mov_b32 s53, 0x3fe0d888
	s_mov_b32 s52, s16
	v_fma_f64 v[96:97], v[90:91], v[104:105], v[0:1]
	v_mul_f64 v[0:1], v[92:93], v[104:105]
	v_fma_f64 v[92:93], v[90:91], v[106:107], -v[0:1]
	s_waitcnt vmcnt(0)
	v_mul_f64 v[0:1], v[4:5], v[158:159]
	v_fma_f64 v[160:161], v[2:3], v[156:157], v[0:1]
	v_mul_f64 v[0:1], v[4:5], v[156:157]
	v_fma_f64 v[156:157], v[2:3], v[158:159], -v[0:1]
	s_clause 0x7
	buffer_load_dword v2, off, s[60:63], 0 offset:332
	buffer_load_dword v3, off, s[60:63], 0 offset:336
	;; [unrolled: 1-line block ×8, first 2 shown]
	s_waitcnt vmcnt(4)
	v_mul_f64 v[0:1], v[4:5], v[182:183]
	v_fma_f64 v[88:89], v[2:3], v[180:181], v[0:1]
	v_mul_f64 v[0:1], v[4:5], v[180:181]
	v_add_f64 v[74:75], v[160:161], -v[88:89]
	v_fma_f64 v[84:85], v[2:3], v[182:183], -v[0:1]
	s_waitcnt vmcnt(0)
	v_mul_f64 v[0:1], v[8:9], v[150:151]
	v_mul_f64 v[2:3], v[8:9], v[148:149]
	s_clause 0x13
	buffer_load_dword v8, off, s[60:63], 0 offset:300
	buffer_load_dword v9, off, s[60:63], 0 offset:304
	;; [unrolled: 1-line block ×20, first 2 shown]
	v_add_f64 v[86:87], v[88:89], v[160:161]
	v_add_f64 v[72:73], v[156:157], -v[84:85]
	v_fma_f64 v[158:159], v[6:7], v[148:149], v[0:1]
	v_fma_f64 v[164:165], v[6:7], v[150:151], -v[2:3]
	v_add_f64 v[102:103], v[84:85], v[156:157]
	s_waitcnt vmcnt(16)
	v_mul_f64 v[4:5], v[10:11], v[178:179]
	v_mul_f64 v[0:1], v[10:11], v[176:177]
	s_waitcnt vmcnt(12)
	v_mul_f64 v[2:3], v[16:17], v[146:147]
	s_waitcnt vmcnt(4)
	v_mul_f64 v[10:11], v[28:29], v[142:143]
	v_mul_f64 v[12:13], v[28:29], v[140:141]
	s_clause 0x7
	buffer_load_dword v28, off, s[60:63], 0 offset:220
	buffer_load_dword v29, off, s[60:63], 0 offset:224
	buffer_load_dword v30, off, s[60:63], 0 offset:228
	buffer_load_dword v31, off, s[60:63], 0 offset:232
	buffer_load_dword v38, off, s[60:63], 0 offset:204
	buffer_load_dword v39, off, s[60:63], 0 offset:208
	buffer_load_dword v40, off, s[60:63], 0 offset:212
	buffer_load_dword v41, off, s[60:63], 0 offset:216
	v_mul_f64 v[6:7], v[16:17], v[144:145]
	s_waitcnt vmcnt(8)
	v_mul_f64 v[16:17], v[24:25], v[170:171]
	v_fma_f64 v[148:149], v[8:9], v[176:177], v[4:5]
	v_fma_f64 v[150:151], v[8:9], v[178:179], -v[0:1]
	v_mul_f64 v[4:5], v[20:21], v[174:175]
	v_mul_f64 v[8:9], v[20:21], v[172:173]
	v_fma_f64 v[166:167], v[14:15], v[144:145], v[2:3]
	v_fma_f64 v[140:141], v[26:27], v[140:141], v[10:11]
	v_mul_f64 v[2:3], v[24:25], v[168:169]
	v_fma_f64 v[176:177], v[14:15], v[146:147], -v[6:7]
	v_add_f64 v[14:15], v[184:185], -v[96:97]
	v_add_f64 v[0:1], v[162:163], -v[92:93]
	;; [unrolled: 1-line block ×4, first 2 shown]
	v_fma_f64 v[144:145], v[18:19], v[172:173], v[4:5]
	v_fma_f64 v[146:147], v[18:19], v[174:175], -v[8:9]
	v_fma_f64 v[172:173], v[26:27], v[142:143], -v[12:13]
	v_fma_f64 v[142:143], v[22:23], v[168:169], v[16:17]
	v_fma_f64 v[168:169], v[22:23], v[170:171], -v[2:3]
	v_add_f64 v[22:23], v[92:93], v[162:163]
	v_mul_f64 v[32:33], v[14:15], s[2:3]
	v_add_f64 v[16:17], v[96:97], v[184:185]
	v_mul_f64 v[34:35], v[0:1], s[2:3]
	v_add_f64 v[98:99], v[164:165], v[150:151]
	v_add_f64 v[80:81], v[158:159], v[148:149]
	v_mul_f64 v[180:181], v[14:15], s[26:27]
	v_mul_f64 v[178:179], v[0:1], s[26:27]
	;; [unrolled: 1-line block ×8, first 2 shown]
	v_add_f64 v[162:163], v[114:115], v[162:163]
	v_mul_f64 v[174:175], v[78:79], s[42:43]
	v_add_f64 v[184:185], v[112:113], v[184:185]
	v_add_f64 v[82:83], v[166:167], -v[144:145]
	v_add_f64 v[100:101], v[176:177], v[146:147]
	v_add_f64 v[116:117], v[176:177], -v[146:147]
	;; [unrolled: 2-line block ×3, first 2 shown]
	v_add_f64 v[104:105], v[168:169], v[172:173]
	v_add_f64 v[108:109], v[142:143], v[140:141]
	v_fma_f64 v[44:45], v[16:17], s[0:1], -v[34:35]
	v_fma_f64 v[34:35], v[16:17], s[0:1], v[34:35]
	v_fma_f64 v[194:195], v[22:23], s[36:37], v[186:187]
	v_fma_f64 v[186:187], v[22:23], s[36:37], -v[186:187]
	v_fma_f64 v[196:197], v[22:23], s[24:25], v[188:189]
	v_fma_f64 v[188:189], v[22:23], s[24:25], -v[188:189]
	v_fma_f64 v[198:199], v[22:23], s[18:19], -v[190:191]
	v_fma_f64 v[190:191], v[22:23], s[18:19], v[190:191]
	v_fma_f64 v[210:211], v[16:17], s[36:37], -v[202:203]
	v_fma_f64 v[202:203], v[16:17], s[36:37], v[202:203]
	v_fma_f64 v[212:213], v[16:17], s[24:25], -v[204:205]
	v_fma_f64 v[204:205], v[16:17], s[24:25], v[204:205]
	v_fma_f64 v[214:215], v[16:17], s[18:19], v[206:207]
	v_fma_f64 v[206:207], v[16:17], s[18:19], -v[206:207]
	v_add_f64 v[44:45], v[112:113], v[44:45]
	v_add_f64 v[34:35], v[112:113], v[34:35]
	;; [unrolled: 1-line block ×12, first 2 shown]
	s_waitcnt vmcnt(4)
	v_mul_f64 v[6:7], v[30:31], v[126:127]
	s_waitcnt vmcnt(0)
	v_mul_f64 v[18:19], v[40:41], v[154:155]
	v_mul_f64 v[20:21], v[40:41], v[152:153]
	s_clause 0x7
	buffer_load_dword v40, off, s[60:63], 0 offset:380
	buffer_load_dword v41, off, s[60:63], 0 offset:384
	;; [unrolled: 1-line block ×8, first 2 shown]
	v_mul_f64 v[4:5], v[30:31], v[124:125]
	v_fma_f64 v[6:7], v[28:29], v[124:125], v[6:7]
	v_fma_f64 v[2:3], v[38:39], v[152:153], v[18:19]
	v_add_f64 v[124:125], v[172:173], -v[168:169]
	v_fma_f64 v[8:9], v[28:29], v[126:127], -v[4:5]
	v_fma_f64 v[4:5], v[38:39], v[154:155], -v[20:21]
	v_mul_f64 v[38:39], v[74:75], s[12:13]
	v_add_f64 v[106:107], v[2:3], v[6:7]
	v_mul_f64 v[58:59], v[124:125], s[26:27]
	v_add_f64 v[94:95], v[4:5], v[8:9]
	s_waitcnt vmcnt(4)
	v_mul_f64 v[24:25], v[42:43], v[122:123]
	s_waitcnt vmcnt(0)
	v_mul_f64 v[26:27], v[50:51], v[134:135]
	v_mul_f64 v[28:29], v[50:51], v[132:133]
	s_clause 0x7
	buffer_load_dword v50, off, s[60:63], 0 offset:412
	buffer_load_dword v51, off, s[60:63], 0 offset:416
	;; [unrolled: 1-line block ×8, first 2 shown]
	v_mul_f64 v[12:13], v[42:43], v[120:121]
	v_mul_f64 v[42:43], v[72:73], s[12:13]
	v_fma_f64 v[10:11], v[40:41], v[120:121], v[24:25]
	v_fma_f64 v[24:25], v[48:49], v[132:133], v[26:27]
	v_fma_f64 v[26:27], v[48:49], v[134:135], -v[28:29]
	v_mul_f64 v[48:49], v[76:77], s[16:17]
	v_fma_f64 v[12:13], v[40:41], v[122:123], -v[12:13]
	v_fma_f64 v[40:41], v[22:23], s[0:1], v[32:33]
	v_fma_f64 v[32:33], v[22:23], s[0:1], -v[32:33]
	v_add_f64 v[122:123], v[6:7], -v[2:3]
	v_add_f64 v[40:41], v[114:115], v[40:41]
	v_add_f64 v[32:33], v[114:115], v[32:33]
	v_mul_f64 v[60:61], v[122:123], s[28:29]
	s_waitcnt vmcnt(4)
	v_mul_f64 v[30:31], v[52:53], v[138:139]
	v_mul_f64 v[36:37], v[52:53], v[136:137]
	s_waitcnt vmcnt(0)
	v_mul_f64 v[46:47], v[56:57], v[130:131]
	v_fma_f64 v[52:53], v[86:87], s[6:7], -v[42:43]
	v_fma_f64 v[18:19], v[50:51], v[136:137], v[30:31]
	v_fma_f64 v[20:21], v[50:51], v[138:139], -v[36:37]
	v_mul_f64 v[30:31], v[56:57], v[128:129]
	v_mul_f64 v[36:37], v[78:79], s[16:17]
	v_fma_f64 v[50:51], v[102:103], s[6:7], v[38:39]
	v_fma_f64 v[38:39], v[102:103], s[6:7], -v[38:39]
	v_fma_f64 v[28:29], v[54:55], v[128:129], v[46:47]
	v_mul_f64 v[46:47], v[82:83], s[22:23]
	v_add_f64 v[44:45], v[52:53], v[44:45]
	v_mul_f64 v[56:57], v[118:119], s[26:27]
	v_add_f64 v[128:129], v[8:9], -v[4:5]
	v_add_f64 v[120:121], v[10:11], -v[18:19]
	v_add_f64 v[90:91], v[12:13], v[20:21]
	v_fma_f64 v[30:31], v[54:55], v[130:131], -v[30:31]
	v_fma_f64 v[54:55], v[98:99], s[14:15], v[36:37]
	v_add_f64 v[40:41], v[50:51], v[40:41]
	v_fma_f64 v[50:51], v[80:81], s[14:15], -v[48:49]
	v_add_f64 v[32:33], v[38:39], v[32:33]
	v_fma_f64 v[38:39], v[86:87], s[6:7], v[42:43]
	v_fma_f64 v[36:37], v[98:99], s[14:15], -v[36:37]
	v_fma_f64 v[52:53], v[100:101], s[18:19], v[46:47]
	v_mul_f64 v[62:63], v[128:129], s[28:29]
	v_add_f64 v[136:137], v[12:13], -v[20:21]
	v_add_f64 v[130:131], v[10:11], v[18:19]
	v_add_f64 v[134:135], v[24:25], -v[28:29]
	v_add_f64 v[132:133], v[24:25], v[28:29]
	v_mul_f64 v[42:43], v[72:73], s[28:29]
	v_mul_f64 v[70:71], v[128:129], s[2:3]
	;; [unrolled: 1-line block ×4, first 2 shown]
	v_add_f64 v[126:127], v[26:27], v[30:31]
	v_add_f64 v[138:139], v[26:27], -v[30:31]
	v_add_f64 v[40:41], v[54:55], v[40:41]
	v_add_f64 v[44:45], v[50:51], v[44:45]
	v_mul_f64 v[50:51], v[116:117], s[22:23]
	v_add_f64 v[34:35], v[38:39], v[34:35]
	v_add_f64 v[32:33], v[36:37], v[32:33]
	v_fma_f64 v[36:37], v[80:81], s[14:15], v[48:49]
	v_mul_f64 v[66:67], v[136:137], s[34:35]
	v_mul_f64 v[154:155], v[136:137], s[22:23]
	;; [unrolled: 1-line block ×4, first 2 shown]
	v_add_f64 v[40:41], v[52:53], v[40:41]
	v_fma_f64 v[52:53], v[110:111], s[18:19], -v[50:51]
	v_add_f64 v[34:35], v[36:37], v[34:35]
	v_fma_f64 v[36:37], v[100:101], s[18:19], -v[46:47]
	v_add_f64 v[44:45], v[52:53], v[44:45]
	v_fma_f64 v[52:53], v[104:105], s[20:21], v[56:57]
	v_add_f64 v[32:33], v[36:37], v[32:33]
	v_fma_f64 v[36:37], v[110:111], s[18:19], v[50:51]
	v_add_f64 v[40:41], v[52:53], v[40:41]
	v_fma_f64 v[52:53], v[108:109], s[20:21], -v[58:59]
	v_add_f64 v[34:35], v[36:37], v[34:35]
	v_fma_f64 v[36:37], v[104:105], s[20:21], -v[56:57]
	v_add_f64 v[44:45], v[52:53], v[44:45]
	v_fma_f64 v[52:53], v[94:95], s[24:25], v[60:61]
	v_add_f64 v[32:33], v[36:37], v[32:33]
	v_fma_f64 v[36:37], v[108:109], s[20:21], v[58:59]
	;; [unrolled: 8-line block ×3, first 2 shown]
	v_add_f64 v[40:41], v[52:53], v[40:41]
	v_fma_f64 v[52:53], v[130:131], s[30:31], -v[66:67]
	v_add_f64 v[34:35], v[36:37], v[34:35]
	v_fma_f64 v[36:37], v[90:91], s[30:31], -v[64:65]
	v_mul_f64 v[64:65], v[118:119], s[42:43]
	v_add_f64 v[44:45], v[52:53], v[44:45]
	v_fma_f64 v[52:53], v[126:127], s[36:37], v[68:69]
	v_add_f64 v[32:33], v[36:37], v[32:33]
	v_fma_f64 v[36:37], v[130:131], s[30:31], v[66:67]
	v_mul_f64 v[66:67], v[124:125], s[42:43]
	v_add_f64 v[54:55], v[52:53], v[40:41]
	v_mul_f64 v[40:41], v[138:139], s[40:41]
	v_add_f64 v[34:35], v[36:37], v[34:35]
	v_fma_f64 v[36:37], v[126:127], s[36:37], -v[68:69]
	v_mul_f64 v[68:69], v[122:123], s[2:3]
	v_fma_f64 v[38:39], v[132:133], s[36:37], v[40:41]
	v_fma_f64 v[52:53], v[132:133], s[36:37], -v[40:41]
	v_add_f64 v[58:59], v[36:37], v[32:33]
	v_mul_f64 v[32:33], v[14:15], s[16:17]
	v_mul_f64 v[36:37], v[74:75], s[28:29]
	v_add_f64 v[56:57], v[38:39], v[34:35]
	v_add_f64 v[52:53], v[52:53], v[44:45]
	v_fma_f64 v[44:45], v[86:87], s[24:25], -v[42:43]
	v_fma_f64 v[34:35], v[22:23], s[14:15], v[32:33]
	v_fma_f64 v[38:39], v[102:103], s[24:25], v[36:37]
	v_fma_f64 v[32:33], v[22:23], s[14:15], -v[32:33]
	v_fma_f64 v[36:37], v[102:103], s[24:25], -v[36:37]
	v_add_f64 v[34:35], v[114:115], v[34:35]
	v_add_f64 v[32:33], v[114:115], v[32:33]
	;; [unrolled: 1-line block ×3, first 2 shown]
	v_mul_f64 v[38:39], v[0:1], s[16:17]
	v_add_f64 v[32:33], v[36:37], v[32:33]
	v_fma_f64 v[40:41], v[16:17], s[14:15], -v[38:39]
	v_fma_f64 v[36:37], v[16:17], s[14:15], v[38:39]
	v_fma_f64 v[38:39], v[86:87], s[24:25], v[42:43]
	v_mul_f64 v[42:43], v[116:117], s[16:17]
	v_add_f64 v[40:41], v[112:113], v[40:41]
	v_add_f64 v[36:37], v[112:113], v[36:37]
	;; [unrolled: 1-line block ×3, first 2 shown]
	v_mul_f64 v[44:45], v[78:79], s[38:39]
	v_add_f64 v[36:37], v[38:39], v[36:37]
	v_fma_f64 v[46:47], v[98:99], s[36:37], v[44:45]
	v_fma_f64 v[38:39], v[98:99], s[36:37], -v[44:45]
	v_mul_f64 v[44:45], v[120:121], s[2:3]
	v_add_f64 v[34:35], v[46:47], v[34:35]
	v_mul_f64 v[46:47], v[76:77], s[38:39]
	v_add_f64 v[32:33], v[38:39], v[32:33]
	v_fma_f64 v[48:49], v[80:81], s[36:37], -v[46:47]
	v_fma_f64 v[38:39], v[80:81], s[36:37], v[46:47]
	v_mul_f64 v[46:47], v[76:77], s[42:43]
	v_add_f64 v[40:41], v[48:49], v[40:41]
	v_mul_f64 v[48:49], v[82:83], s[44:45]
	v_add_f64 v[36:37], v[38:39], v[36:37]
	v_fma_f64 v[50:51], v[100:101], s[20:21], v[48:49]
	v_fma_f64 v[38:39], v[100:101], s[20:21], -v[48:49]
	v_mul_f64 v[48:49], v[122:123], s[48:49]
	v_add_f64 v[34:35], v[50:51], v[34:35]
	v_mul_f64 v[50:51], v[116:117], s[44:45]
	v_add_f64 v[32:33], v[38:39], v[32:33]
	v_fma_f64 v[60:61], v[110:111], s[20:21], -v[50:51]
	v_fma_f64 v[38:39], v[110:111], s[20:21], v[50:51]
	v_mul_f64 v[50:51], v[72:73], s[46:47]
	v_add_f64 v[40:41], v[60:61], v[40:41]
	v_fma_f64 v[60:61], v[104:105], s[6:7], v[64:65]
	v_add_f64 v[36:37], v[38:39], v[36:37]
	v_fma_f64 v[38:39], v[104:105], s[6:7], -v[64:65]
	v_add_f64 v[34:35], v[60:61], v[34:35]
	v_fma_f64 v[60:61], v[108:109], s[6:7], -v[66:67]
	v_add_f64 v[32:33], v[38:39], v[32:33]
	v_fma_f64 v[38:39], v[108:109], s[6:7], v[66:67]
	v_add_f64 v[40:41], v[60:61], v[40:41]
	v_fma_f64 v[60:61], v[94:95], s[0:1], v[68:69]
	v_add_f64 v[36:37], v[38:39], v[36:37]
	v_fma_f64 v[38:39], v[94:95], s[0:1], -v[68:69]
	v_add_f64 v[34:35], v[60:61], v[34:35]
	v_fma_f64 v[60:61], v[106:107], s[0:1], -v[70:71]
	v_add_f64 v[32:33], v[38:39], v[32:33]
	v_fma_f64 v[38:39], v[106:107], s[0:1], v[70:71]
	v_add_f64 v[40:41], v[60:61], v[40:41]
	v_fma_f64 v[60:61], v[90:91], s[18:19], v[152:153]
	v_add_f64 v[36:37], v[38:39], v[36:37]
	v_fma_f64 v[38:39], v[90:91], s[18:19], -v[152:153]
	v_mul_f64 v[152:153], v[118:119], s[40:41]
	v_add_f64 v[34:35], v[60:61], v[34:35]
	v_fma_f64 v[60:61], v[130:131], s[18:19], -v[154:155]
	v_add_f64 v[32:33], v[38:39], v[32:33]
	v_fma_f64 v[38:39], v[130:131], s[18:19], v[154:155]
	v_mul_f64 v[154:155], v[74:75], s[46:47]
	v_add_f64 v[40:41], v[60:61], v[40:41]
	v_fma_f64 v[60:61], v[126:127], s[30:31], v[170:171]
	v_add_f64 v[36:37], v[38:39], v[36:37]
	v_fma_f64 v[38:39], v[126:127], s[30:31], -v[170:171]
	v_mul_f64 v[170:171], v[82:83], s[16:17]
	v_add_f64 v[62:63], v[60:61], v[34:35]
	v_mul_f64 v[34:35], v[138:139], s[34:35]
	v_add_f64 v[66:67], v[38:39], v[32:33]
	v_fma_f64 v[32:33], v[22:23], s[20:21], v[180:181]
	v_mul_f64 v[38:39], v[128:129], s[48:49]
	v_fma_f64 v[180:181], v[22:23], s[20:21], -v[180:181]
	v_fma_f64 v[60:61], v[132:133], s[30:31], -v[34:35]
	v_fma_f64 v[34:35], v[132:133], s[30:31], v[34:35]
	v_add_f64 v[32:33], v[114:115], v[32:33]
	v_add_f64 v[60:61], v[60:61], v[40:41]
	;; [unrolled: 1-line block ×3, first 2 shown]
	v_fma_f64 v[34:35], v[102:103], s[30:31], v[154:155]
	v_fma_f64 v[36:37], v[86:87], s[30:31], -v[50:51]
	v_mul_f64 v[40:41], v[124:125], s[40:41]
	v_add_f64 v[32:33], v[34:35], v[32:33]
	v_fma_f64 v[34:35], v[16:17], s[20:21], -v[178:179]
	v_fma_f64 v[178:179], v[16:17], s[20:21], v[178:179]
	v_add_f64 v[34:35], v[112:113], v[34:35]
	v_add_f64 v[178:179], v[112:113], v[178:179]
	;; [unrolled: 1-line block ×3, first 2 shown]
	v_fma_f64 v[36:37], v[98:99], s[6:7], v[174:175]
	v_add_f64 v[32:33], v[36:37], v[32:33]
	v_fma_f64 v[36:37], v[80:81], s[6:7], -v[46:47]
	v_add_f64 v[34:35], v[36:37], v[34:35]
	v_fma_f64 v[36:37], v[100:101], s[14:15], v[170:171]
	v_add_f64 v[32:33], v[36:37], v[32:33]
	v_fma_f64 v[36:37], v[110:111], s[14:15], -v[42:43]
	v_add_f64 v[34:35], v[36:37], v[34:35]
	;; [unrolled: 4-line block ×4, first 2 shown]
	v_fma_f64 v[36:37], v[90:91], s[0:1], v[44:45]
	v_add_f64 v[32:33], v[36:37], v[32:33]
	v_mul_f64 v[36:37], v[136:137], s[2:3]
	v_fma_f64 v[68:69], v[130:131], s[0:1], -v[36:37]
	v_add_f64 v[68:69], v[68:69], v[34:35]
	v_mul_f64 v[34:35], v[134:135], s[28:29]
	v_fma_f64 v[70:71], v[126:127], s[24:25], v[34:35]
	v_fma_f64 v[34:35], v[126:127], s[24:25], -v[34:35]
	v_add_f64 v[70:71], v[70:71], v[32:33]
	v_mul_f64 v[32:33], v[138:139], s[28:29]
	v_fma_f64 v[182:183], v[132:133], s[24:25], -v[32:33]
	v_fma_f64 v[32:33], v[132:133], s[24:25], v[32:33]
	v_add_f64 v[68:69], v[182:183], v[68:69]
	v_mul_f64 v[182:183], v[14:15], s[34:35]
	v_mul_f64 v[14:15], v[14:15], s[42:43]
	v_fma_f64 v[192:193], v[22:23], s[30:31], -v[182:183]
	v_fma_f64 v[182:183], v[22:23], s[30:31], v[182:183]
	v_fma_f64 v[200:201], v[22:23], s[6:7], -v[14:15]
	v_fma_f64 v[14:15], v[22:23], s[6:7], v[14:15]
	v_mul_f64 v[22:23], v[0:1], s[34:35]
	v_mul_f64 v[0:1], v[0:1], s[42:43]
	v_add_f64 v[182:183], v[114:115], v[182:183]
	v_add_f64 v[200:201], v[114:115], v[200:201]
	;; [unrolled: 1-line block ×3, first 2 shown]
	v_fma_f64 v[208:209], v[16:17], s[30:31], -v[22:23]
	v_fma_f64 v[22:23], v[16:17], s[30:31], v[22:23]
	v_fma_f64 v[216:217], v[16:17], s[6:7], v[0:1]
	v_fma_f64 v[0:1], v[16:17], s[6:7], -v[0:1]
	v_add_f64 v[16:17], v[114:115], v[180:181]
	v_add_f64 v[180:181], v[114:115], v[192:193]
	;; [unrolled: 1-line block ×17, first 2 shown]
	v_mul_f64 v[114:115], v[138:139], s[16:17]
	v_add_f64 v[0:1], v[8:9], v[0:1]
	v_add_f64 v[6:7], v[10:11], v[6:7]
	v_fma_f64 v[10:11], v[86:87], s[30:31], v[50:51]
	v_add_f64 v[0:1], v[12:13], v[0:1]
	v_add_f64 v[6:7], v[24:25], v[6:7]
	v_fma_f64 v[12:13], v[100:101], s[14:15], -v[170:171]
	v_add_f64 v[10:11], v[10:11], v[178:179]
	v_add_f64 v[0:1], v[26:27], v[0:1]
	;; [unrolled: 1-line block ×5, first 2 shown]
	v_mul_f64 v[18:19], v[78:79], s[22:23]
	v_add_f64 v[0:1], v[20:21], v[0:1]
	v_add_f64 v[2:3], v[2:3], v[6:7]
	v_fma_f64 v[6:7], v[98:99], s[6:7], -v[174:175]
	v_fma_f64 v[20:21], v[98:99], s[18:19], -v[18:19]
	v_fma_f64 v[18:19], v[98:99], s[18:19], v[18:19]
	v_add_f64 v[0:1], v[4:5], v[0:1]
	v_add_f64 v[2:3], v[142:143], v[2:3]
	;; [unrolled: 1-line block ×11, first 2 shown]
	v_fma_f64 v[4:5], v[102:103], s[30:31], -v[154:155]
	v_add_f64 v[4:5], v[4:5], v[16:17]
	v_add_f64 v[4:5], v[6:7], v[4:5]
	v_mul_f64 v[6:7], v[74:75], s[52:53]
	v_add_f64 v[4:5], v[12:13], v[4:5]
	v_fma_f64 v[8:9], v[102:103], s[14:15], -v[6:7]
	v_fma_f64 v[6:7], v[102:103], s[14:15], v[6:7]
	v_mul_f64 v[12:13], v[72:73], s[52:53]
	v_add_f64 v[8:9], v[8:9], v[180:181]
	v_add_f64 v[6:7], v[6:7], v[182:183]
	v_fma_f64 v[16:17], v[86:87], s[14:15], -v[12:13]
	v_fma_f64 v[12:13], v[86:87], s[14:15], v[12:13]
	v_add_f64 v[8:9], v[20:21], v[8:9]
	v_fma_f64 v[20:21], v[80:81], s[6:7], v[46:47]
	v_add_f64 v[6:7], v[18:19], v[6:7]
	v_mul_f64 v[18:19], v[76:77], s[22:23]
	v_add_f64 v[16:17], v[16:17], v[192:193]
	v_add_f64 v[12:13], v[12:13], v[22:23]
	v_fma_f64 v[22:23], v[106:107], s[18:19], v[38:39]
	v_add_f64 v[10:11], v[20:21], v[10:11]
	v_fma_f64 v[20:21], v[104:105], s[36:37], -v[152:153]
	v_add_f64 v[4:5], v[20:21], v[4:5]
	v_fma_f64 v[20:21], v[80:81], s[18:19], -v[18:19]
	v_fma_f64 v[18:19], v[80:81], s[18:19], v[18:19]
	v_add_f64 v[16:17], v[20:21], v[16:17]
	v_mul_f64 v[20:21], v[82:83], s[50:51]
	v_add_f64 v[12:13], v[18:19], v[12:13]
	v_fma_f64 v[18:19], v[130:131], s[0:1], v[36:37]
	v_fma_f64 v[24:25], v[100:101], s[24:25], -v[20:21]
	v_fma_f64 v[20:21], v[100:101], s[24:25], v[20:21]
	v_add_f64 v[8:9], v[24:25], v[8:9]
	v_fma_f64 v[24:25], v[110:111], s[14:15], v[42:43]
	v_add_f64 v[6:7], v[20:21], v[6:7]
	v_mul_f64 v[20:21], v[116:117], s[50:51]
	v_mul_f64 v[42:43], v[116:117], s[12:13]
	v_add_f64 v[10:11], v[24:25], v[10:11]
	v_fma_f64 v[24:25], v[94:95], s[18:19], -v[48:49]
	v_add_f64 v[4:5], v[24:25], v[4:5]
	v_fma_f64 v[24:25], v[110:111], s[24:25], -v[20:21]
	v_fma_f64 v[20:21], v[110:111], s[24:25], v[20:21]
	v_add_f64 v[16:17], v[24:25], v[16:17]
	v_mul_f64 v[24:25], v[118:119], s[2:3]
	v_add_f64 v[12:13], v[20:21], v[12:13]
	v_mul_f64 v[20:21], v[78:79], s[46:47]
	v_fma_f64 v[26:27], v[104:105], s[0:1], -v[24:25]
	v_fma_f64 v[24:25], v[104:105], s[0:1], v[24:25]
	v_fma_f64 v[38:39], v[98:99], s[30:31], v[20:21]
	v_fma_f64 v[20:21], v[98:99], s[30:31], -v[20:21]
	v_add_f64 v[8:9], v[26:27], v[8:9]
	v_fma_f64 v[26:27], v[108:109], s[36:37], v[40:41]
	v_add_f64 v[6:7], v[24:25], v[6:7]
	v_mul_f64 v[24:25], v[124:125], s[2:3]
	v_add_f64 v[10:11], v[26:27], v[10:11]
	v_fma_f64 v[26:27], v[90:91], s[0:1], -v[44:45]
	v_fma_f64 v[44:45], v[110:111], s[6:7], -v[42:43]
	v_add_f64 v[10:11], v[22:23], v[10:11]
	v_add_f64 v[4:5], v[26:27], v[4:5]
	v_fma_f64 v[26:27], v[108:109], s[0:1], -v[24:25]
	v_fma_f64 v[24:25], v[108:109], s[0:1], v[24:25]
	v_add_f64 v[16:17], v[26:27], v[16:17]
	v_mul_f64 v[26:27], v[122:123], s[40:41]
	v_add_f64 v[12:13], v[24:25], v[12:13]
	v_fma_f64 v[22:23], v[94:95], s[36:37], v[26:27]
	v_fma_f64 v[28:29], v[94:95], s[36:37], -v[26:27]
	v_add_f64 v[6:7], v[22:23], v[6:7]
	v_mul_f64 v[22:23], v[128:129], s[40:41]
	v_add_f64 v[8:9], v[28:29], v[8:9]
	s_mov_b32 s41, 0x3fc7851a
	s_mov_b32 s40, s2
	v_fma_f64 v[26:27], v[106:107], s[36:37], -v[22:23]
	v_fma_f64 v[22:23], v[106:107], s[36:37], v[22:23]
	v_add_f64 v[16:17], v[26:27], v[16:17]
	v_mul_f64 v[26:27], v[120:121], s[42:43]
	v_add_f64 v[12:13], v[22:23], v[12:13]
	v_mul_f64 v[22:23], v[72:73], s[26:27]
	v_fma_f64 v[28:29], v[90:91], s[6:7], -v[26:27]
	v_fma_f64 v[26:27], v[90:91], s[6:7], v[26:27]
	v_add_f64 v[8:9], v[28:29], v[8:9]
	v_add_f64 v[28:29], v[18:19], v[10:11]
	v_mul_f64 v[10:11], v[74:75], s[2:3]
	v_add_f64 v[30:31], v[26:27], v[6:7]
	v_mul_f64 v[6:7], v[136:137], s[42:43]
	v_fma_f64 v[18:19], v[102:103], s[0:1], v[10:11]
	v_fma_f64 v[10:11], v[102:103], s[0:1], -v[10:11]
	v_fma_f64 v[26:27], v[130:131], s[6:7], -v[6:7]
	v_fma_f64 v[6:7], v[130:131], s[6:7], v[6:7]
	v_add_f64 v[18:19], v[18:19], v[194:195]
	v_add_f64 v[10:11], v[10:11], v[186:187]
	;; [unrolled: 1-line block ×3, first 2 shown]
	v_mul_f64 v[16:17], v[72:73], s[2:3]
	v_add_f64 v[18:19], v[38:39], v[18:19]
	v_add_f64 v[10:11], v[20:21], v[10:11]
	v_mul_f64 v[20:21], v[82:83], s[12:13]
	v_fma_f64 v[26:27], v[86:87], s[0:1], -v[16:17]
	v_mul_f64 v[38:39], v[76:77], s[46:47]
	v_fma_f64 v[16:17], v[86:87], s[0:1], v[16:17]
	v_fma_f64 v[24:25], v[100:101], s[6:7], v[20:21]
	v_fma_f64 v[20:21], v[100:101], s[6:7], -v[20:21]
	v_add_f64 v[26:27], v[26:27], v[208:209]
	v_fma_f64 v[40:41], v[80:81], s[30:31], -v[38:39]
	v_add_f64 v[16:17], v[16:17], v[202:203]
	v_fma_f64 v[38:39], v[80:81], s[30:31], v[38:39]
	v_add_f64 v[18:19], v[24:25], v[18:19]
	v_mul_f64 v[24:25], v[74:75], s[26:27]
	v_add_f64 v[10:11], v[20:21], v[10:11]
	v_mul_f64 v[20:21], v[118:119], s[50:51]
	v_add_f64 v[26:27], v[40:41], v[26:27]
	v_add_f64 v[16:17], v[38:39], v[16:17]
	v_mul_f64 v[38:39], v[78:79], s[40:41]
	v_fma_f64 v[40:41], v[102:103], s[20:21], v[24:25]
	v_fma_f64 v[24:25], v[102:103], s[20:21], -v[24:25]
	v_fma_f64 v[46:47], v[104:105], s[24:25], v[20:21]
	v_add_f64 v[26:27], v[44:45], v[26:27]
	v_fma_f64 v[44:45], v[86:87], s[20:21], -v[22:23]
	v_fma_f64 v[20:21], v[104:105], s[24:25], -v[20:21]
	v_fma_f64 v[22:23], v[86:87], s[20:21], v[22:23]
	v_add_f64 v[40:41], v[40:41], v[196:197]
	v_add_f64 v[24:25], v[24:25], v[188:189]
	;; [unrolled: 1-line block ×3, first 2 shown]
	v_fma_f64 v[46:47], v[98:99], s[0:1], v[38:39]
	v_fma_f64 v[38:39], v[98:99], s[0:1], -v[38:39]
	v_add_f64 v[44:45], v[44:45], v[210:211]
	v_add_f64 v[10:11], v[20:21], v[10:11]
	v_mul_f64 v[20:21], v[122:123], s[16:17]
	v_add_f64 v[22:23], v[22:23], v[204:205]
	v_add_f64 v[40:41], v[46:47], v[40:41]
	v_mul_f64 v[46:47], v[124:125], s[50:51]
	v_add_f64 v[24:25], v[38:39], v[24:25]
	v_fma_f64 v[38:39], v[110:111], s[6:7], v[42:43]
	v_fma_f64 v[48:49], v[108:109], s[24:25], -v[46:47]
	v_add_f64 v[16:17], v[38:39], v[16:17]
	v_mul_f64 v[38:39], v[82:83], s[46:47]
	v_add_f64 v[26:27], v[48:49], v[26:27]
	v_mul_f64 v[48:49], v[76:77], s[40:41]
	v_fma_f64 v[42:43], v[100:101], s[30:31], v[38:39]
	v_fma_f64 v[50:51], v[80:81], s[0:1], -v[48:49]
	v_add_f64 v[40:41], v[42:43], v[40:41]
	v_mul_f64 v[42:43], v[128:129], s[16:17]
	v_add_f64 v[44:45], v[50:51], v[44:45]
	v_fma_f64 v[50:51], v[94:95], s[14:15], v[20:21]
	v_fma_f64 v[20:21], v[94:95], s[14:15], -v[20:21]
	v_add_f64 v[18:19], v[50:51], v[18:19]
	v_fma_f64 v[50:51], v[106:107], s[14:15], -v[42:43]
	v_add_f64 v[10:11], v[20:21], v[10:11]
	v_add_f64 v[26:27], v[50:51], v[26:27]
	v_mul_f64 v[50:51], v[116:117], s[46:47]
	v_fma_f64 v[84:85], v[110:111], s[30:31], -v[50:51]
	v_add_f64 v[44:45], v[84:85], v[44:45]
	v_add_f64 v[84:85], v[6:7], v[12:13]
	v_mul_f64 v[6:7], v[120:121], s[44:45]
	v_fma_f64 v[12:13], v[90:91], s[20:21], v[6:7]
	v_fma_f64 v[6:7], v[90:91], s[20:21], -v[6:7]
	v_add_f64 v[88:89], v[12:13], v[18:19]
	v_fma_f64 v[12:13], v[100:101], s[30:31], -v[38:39]
	v_fma_f64 v[18:19], v[108:109], s[24:25], v[46:47]
	v_mul_f64 v[46:47], v[72:73], s[38:39]
	v_add_f64 v[12:13], v[12:13], v[24:25]
	v_mul_f64 v[24:25], v[136:137], s[44:45]
	v_add_f64 v[16:17], v[18:19], v[16:17]
	v_mul_f64 v[18:19], v[118:119], s[22:23]
	v_fma_f64 v[38:39], v[130:131], s[20:21], -v[24:25]
	v_fma_f64 v[24:25], v[130:131], s[20:21], v[24:25]
	v_fma_f64 v[20:21], v[104:105], s[18:19], v[18:19]
	v_add_f64 v[38:39], v[38:39], v[26:27]
	v_fma_f64 v[26:27], v[80:81], s[0:1], v[48:49]
	v_add_f64 v[20:21], v[20:21], v[40:41]
	v_mul_f64 v[48:49], v[72:73], s[48:49]
	v_add_f64 v[22:23], v[26:27], v[22:23]
	v_mul_f64 v[26:27], v[124:125], s[22:23]
	v_fma_f64 v[72:73], v[86:87], s[18:19], v[48:49]
	v_fma_f64 v[48:49], v[86:87], s[18:19], -v[48:49]
	v_fma_f64 v[40:41], v[108:109], s[18:19], -v[26:27]
	v_add_f64 v[72:73], v[72:73], v[212:213]
	v_add_f64 v[48:49], v[48:49], v[112:113]
	v_mul_f64 v[112:113], v[138:139], s[12:13]
	v_add_f64 v[40:41], v[40:41], v[44:45]
	v_add_f64 v[44:45], v[6:7], v[10:11]
	v_fma_f64 v[6:7], v[104:105], s[18:19], -v[18:19]
	v_fma_f64 v[10:11], v[106:107], s[14:15], v[42:43]
	v_fma_f64 v[18:19], v[110:111], s[30:31], v[50:51]
	;; [unrolled: 1-line block ×3, first 2 shown]
	v_fma_f64 v[46:47], v[86:87], s[36:37], -v[46:47]
	v_add_f64 v[6:7], v[6:7], v[12:13]
	v_mul_f64 v[12:13], v[122:123], s[42:43]
	v_add_f64 v[10:11], v[10:11], v[16:17]
	v_add_f64 v[18:19], v[18:19], v[22:23]
	;; [unrolled: 1-line block ×4, first 2 shown]
	v_fma_f64 v[16:17], v[94:95], s[6:7], v[12:13]
	v_fma_f64 v[12:13], v[94:95], s[6:7], -v[12:13]
	v_add_f64 v[16:17], v[16:17], v[20:21]
	v_mul_f64 v[20:21], v[128:129], s[42:43]
	v_add_f64 v[6:7], v[12:13], v[6:7]
	v_fma_f64 v[12:13], v[108:109], s[18:19], v[26:27]
	v_fma_f64 v[22:23], v[106:107], s[6:7], -v[20:21]
	v_fma_f64 v[20:21], v[106:107], s[6:7], v[20:21]
	v_add_f64 v[12:13], v[12:13], v[18:19]
	v_mul_f64 v[18:19], v[74:75], s[38:39]
	v_add_f64 v[22:23], v[22:23], v[40:41]
	v_mul_f64 v[40:41], v[74:75], s[48:49]
	v_mul_f64 v[74:75], v[78:79], s[26:27]
	v_fma_f64 v[26:27], v[102:103], s[36:37], -v[18:19]
	v_fma_f64 v[18:19], v[102:103], s[36:37], v[18:19]
	v_mul_f64 v[78:79], v[78:79], s[50:51]
	v_add_f64 v[12:13], v[20:21], v[12:13]
	v_fma_f64 v[42:43], v[102:103], s[18:19], -v[40:41]
	v_fma_f64 v[40:41], v[102:103], s[18:19], v[40:41]
	v_add_f64 v[26:27], v[26:27], v[198:199]
	v_add_f64 v[18:19], v[18:19], v[190:191]
	v_fma_f64 v[86:87], v[98:99], s[20:21], -v[74:75]
	v_fma_f64 v[74:75], v[98:99], s[20:21], v[74:75]
	v_mul_f64 v[102:103], v[128:129], s[46:47]
	v_add_f64 v[42:43], v[42:43], v[200:201]
	v_add_f64 v[14:15], v[40:41], v[14:15]
	v_mul_f64 v[40:41], v[76:77], s[26:27]
	v_mul_f64 v[76:77], v[76:77], s[50:51]
	v_add_f64 v[26:27], v[86:87], v[26:27]
	v_add_f64 v[18:19], v[74:75], v[18:19]
	v_fma_f64 v[86:87], v[98:99], s[24:25], -v[78:79]
	v_fma_f64 v[78:79], v[98:99], s[24:25], v[78:79]
	v_mul_f64 v[98:99], v[122:123], s[26:27]
	v_fma_f64 v[92:93], v[80:81], s[20:21], v[40:41]
	v_fma_f64 v[40:41], v[80:81], s[20:21], -v[40:41]
	v_fma_f64 v[96:97], v[80:81], s[24:25], v[76:77]
	v_fma_f64 v[76:77], v[80:81], s[24:25], -v[76:77]
	v_add_f64 v[42:43], v[86:87], v[42:43]
	v_add_f64 v[14:15], v[78:79], v[14:15]
	v_mul_f64 v[78:79], v[116:117], s[2:3]
	v_add_f64 v[50:51], v[92:93], v[50:51]
	v_add_f64 v[40:41], v[40:41], v[46:47]
	v_mul_f64 v[46:47], v[82:83], s[2:3]
	;; [unrolled: 3-line block ×3, first 2 shown]
	v_fma_f64 v[86:87], v[110:111], s[0:1], v[78:79]
	v_fma_f64 v[78:79], v[110:111], s[0:1], -v[78:79]
	v_mul_f64 v[96:97], v[124:125], s[52:53]
	v_fma_f64 v[74:75], v[100:101], s[0:1], -v[46:47]
	v_fma_f64 v[46:47], v[100:101], s[0:1], v[46:47]
	v_add_f64 v[50:51], v[86:87], v[50:51]
	v_mul_f64 v[86:87], v[124:125], s[34:35]
	v_add_f64 v[40:41], v[78:79], v[40:41]
	v_add_f64 v[26:27], v[74:75], v[26:27]
	v_mul_f64 v[74:75], v[82:83], s[38:39]
	v_mul_f64 v[82:83], v[116:117], s[38:39]
	v_add_f64 v[18:19], v[46:47], v[18:19]
	v_mul_f64 v[46:47], v[122:123], s[46:47]
	v_fma_f64 v[116:117], v[132:133], s[6:7], v[112:113]
	v_fma_f64 v[112:113], v[132:133], s[6:7], -v[112:113]
	v_fma_f64 v[80:81], v[100:101], s[36:37], -v[74:75]
	v_fma_f64 v[92:93], v[110:111], s[36:37], v[82:83]
	v_fma_f64 v[74:75], v[100:101], s[36:37], v[74:75]
	v_fma_f64 v[82:83], v[110:111], s[36:37], -v[82:83]
	v_mul_f64 v[100:101], v[128:129], s[26:27]
	v_mul_f64 v[110:111], v[136:137], s[38:39]
	v_add_f64 v[42:43], v[80:81], v[42:43]
	v_mul_f64 v[80:81], v[118:119], s[34:35]
	v_add_f64 v[72:73], v[92:93], v[72:73]
	v_fma_f64 v[92:93], v[104:105], s[14:15], -v[76:77]
	v_fma_f64 v[76:77], v[104:105], s[14:15], v[76:77]
	v_add_f64 v[14:15], v[74:75], v[14:15]
	v_fma_f64 v[74:75], v[108:109], s[30:31], v[86:87]
	v_add_f64 v[48:49], v[82:83], v[48:49]
	v_mul_f64 v[82:83], v[120:121], s[38:39]
	v_fma_f64 v[86:87], v[108:109], s[30:31], -v[86:87]
	v_fma_f64 v[118:119], v[132:133], s[14:15], v[114:115]
	v_fma_f64 v[78:79], v[104:105], s[30:31], -v[80:81]
	v_fma_f64 v[80:81], v[104:105], s[30:31], v[80:81]
	v_add_f64 v[26:27], v[92:93], v[26:27]
	v_fma_f64 v[92:93], v[108:109], s[14:15], v[96:97]
	v_fma_f64 v[96:97], v[108:109], s[14:15], -v[96:97]
	v_fma_f64 v[104:105], v[94:95], s[30:31], -v[46:47]
	v_add_f64 v[72:73], v[74:75], v[72:73]
	v_add_f64 v[18:19], v[76:77], v[18:19]
	v_fma_f64 v[74:75], v[94:95], s[20:21], -v[98:99]
	v_fma_f64 v[76:77], v[106:107], s[20:21], v[100:101]
	v_fma_f64 v[46:47], v[94:95], s[30:31], v[46:47]
	;; [unrolled: 1-line block ×3, first 2 shown]
	v_fma_f64 v[98:99], v[106:107], s[30:31], -v[102:103]
	v_fma_f64 v[100:101], v[106:107], s[20:21], -v[100:101]
	v_add_f64 v[48:49], v[86:87], v[48:49]
	v_add_f64 v[42:43], v[78:79], v[42:43]
	v_mul_f64 v[78:79], v[120:121], s[28:29]
	v_add_f64 v[14:15], v[80:81], v[14:15]
	v_add_f64 v[50:51], v[92:93], v[50:51]
	;; [unrolled: 1-line block ×3, first 2 shown]
	v_fma_f64 v[92:93], v[106:107], s[30:31], v[102:103]
	v_add_f64 v[26:27], v[104:105], v[26:27]
	v_mul_f64 v[96:97], v[120:121], s[16:17]
	v_mul_f64 v[80:81], v[136:137], s[16:17]
	;; [unrolled: 1-line block ×3, first 2 shown]
	v_fma_f64 v[104:105], v[90:91], s[36:37], -v[82:83]
	v_add_f64 v[72:73], v[76:77], v[72:73]
	v_add_f64 v[18:19], v[46:47], v[18:19]
	v_mul_f64 v[106:107], v[134:135], s[12:13]
	v_fma_f64 v[82:83], v[90:91], s[36:37], v[82:83]
	v_add_f64 v[48:49], v[100:101], v[48:49]
	v_add_f64 v[42:43], v[74:75], v[42:43]
	v_fma_f64 v[108:109], v[90:91], s[24:25], -v[78:79]
	v_add_f64 v[14:15], v[94:95], v[14:15]
	v_fma_f64 v[94:95], v[130:131], s[36:37], -v[110:111]
	v_add_f64 v[40:41], v[98:99], v[40:41]
	v_add_f64 v[50:51], v[92:93], v[50:51]
	v_fma_f64 v[92:93], v[130:131], s[36:37], v[110:111]
	v_fma_f64 v[20:21], v[90:91], s[14:15], -v[96:97]
	v_fma_f64 v[46:47], v[130:131], s[14:15], v[80:81]
	v_fma_f64 v[86:87], v[130:131], s[24:25], v[102:103]
	v_mul_f64 v[98:99], v[134:135], s[16:17]
	v_mul_f64 v[110:111], v[138:139], s[2:3]
	v_fma_f64 v[78:79], v[90:91], s[24:25], v[78:79]
	v_fma_f64 v[90:91], v[90:91], s[14:15], v[96:97]
	v_mul_f64 v[96:97], v[134:135], s[22:23]
	v_add_f64 v[76:77], v[104:105], v[6:7]
	v_mul_f64 v[104:105], v[138:139], s[22:23]
	v_mul_f64 v[74:75], v[134:135], s[26:27]
	;; [unrolled: 1-line block ×3, first 2 shown]
	v_fma_f64 v[102:103], v[130:131], s[24:25], -v[102:103]
	v_fma_f64 v[80:81], v[130:131], s[14:15], -v[80:81]
	v_add_f64 v[82:83], v[82:83], v[16:17]
	v_add_f64 v[26:27], v[108:109], v[26:27]
	v_mul_f64 v[108:109], v[134:135], s[2:3]
	v_add_f64 v[12:13], v[92:93], v[12:13]
	v_add_f64 v[20:21], v[20:21], v[42:43]
	;; [unrolled: 1-line block ×6, first 2 shown]
	v_fma_f64 v[22:23], v[126:127], s[14:15], -v[98:99]
	v_fma_f64 v[24:25], v[126:127], s[6:7], -v[106:107]
	v_fma_f64 v[100:101], v[132:133], s[0:1], v[110:111]
	v_fma_f64 v[16:17], v[126:127], s[18:19], -v[96:97]
	v_fma_f64 v[120:121], v[132:133], s[18:19], v[104:105]
	;; [unrolled: 2-line block ×3, first 2 shown]
	v_fma_f64 v[74:75], v[126:127], s[20:21], v[74:75]
	v_fma_f64 v[72:73], v[132:133], s[20:21], -v[6:7]
	v_fma_f64 v[96:97], v[126:127], s[18:19], v[96:97]
	v_fma_f64 v[104:105], v[132:133], s[18:19], -v[104:105]
	v_add_f64 v[40:41], v[102:103], v[40:41]
	v_fma_f64 v[94:95], v[126:127], s[0:1], -v[108:109]
	v_fma_f64 v[98:99], v[126:127], s[14:15], v[98:99]
	v_fma_f64 v[102:103], v[126:127], s[6:7], v[106:107]
	;; [unrolled: 1-line block ×3, first 2 shown]
	v_fma_f64 v[108:109], v[132:133], s[14:15], -v[114:115]
	v_add_f64 v[78:79], v[78:79], v[18:19]
	v_add_f64 v[90:91], v[90:91], v[14:15]
	v_fma_f64 v[110:111], v[132:133], s[0:1], -v[110:111]
	v_add_f64 v[48:49], v[80:81], v[48:49]
	v_add_f64 v[6:7], v[34:35], v[4:5]
	;; [unrolled: 1-line block ×23, first 2 shown]
	ds_write_b128 v255, v[0:3]
	ds_write_b128 v233, v[24:27] offset:832
	ds_write_b128 v233, v[20:23] offset:1664
	;; [unrolled: 1-line block ×16, first 2 shown]
.LBB0_17:
	s_or_b32 exec_lo, exec_lo, s33
	s_waitcnt lgkmcnt(0)
	s_barrier
	buffer_gl0_inv
	ds_read_b128 v[0:3], v255
	ds_read_b128 v[4:7], v255 offset:1088
	ds_read_b128 v[8:11], v255 offset:2176
	ds_read_b128 v[12:15], v233 offset:3264
	ds_read_b128 v[16:19], v255 offset:4352
	s_clause 0x3
	buffer_load_dword v54, off, s[60:63], 0 offset:36
	buffer_load_dword v55, off, s[60:63], 0 offset:40
	;; [unrolled: 1-line block ×4, first 2 shown]
	v_mad_u64_u32 v[32:33], null, s10, v235, 0
	v_mad_u64_u32 v[34:35], null, s8, v236, 0
	s_mov_b32 s0, 0x1288b013
	s_mov_b32 s1, 0x3f5288b0
	s_mul_i32 s3, s9, 0x440
	s_mul_hi_u32 s6, s8, 0x440
	s_mul_i32 s2, s8, 0x440
	s_add_i32 s6, s6, s3
	v_mad_u64_u32 v[44:45], null, s11, v235, v[33:34]
	s_waitcnt lgkmcnt(4)
	v_mul_f64 v[28:29], v[239:240], v[2:3]
	v_mul_f64 v[30:31], v[239:240], v[0:1]
	v_mov_b32_e32 v33, v44
	v_lshlrev_b64 v[62:63], 4, v[32:33]
	v_fma_f64 v[50:51], v[237:238], v[0:1], v[28:29]
	v_fma_f64 v[52:53], v[237:238], v[2:3], -v[30:31]
	s_waitcnt vmcnt(0) lgkmcnt(3)
	v_mul_f64 v[36:37], v[56:57], v[6:7]
	v_mul_f64 v[38:39], v[56:57], v[4:5]
	s_clause 0x3
	buffer_load_dword v56, off, s[60:63], 0 offset:68
	buffer_load_dword v57, off, s[60:63], 0 offset:72
	;; [unrolled: 1-line block ×4, first 2 shown]
	ds_read_b128 v[20:23], v255 offset:5440
	ds_read_b128 v[24:27], v255 offset:6528
	s_clause 0x3
	buffer_load_dword v66, off, s[60:63], 0 offset:4
	buffer_load_dword v67, off, s[60:63], 0 offset:8
	;; [unrolled: 1-line block ×4, first 2 shown]
	v_mad_u64_u32 v[45:46], null, s9, v236, v[35:36]
	v_fma_f64 v[36:37], v[54:55], v[4:5], v[36:37]
	v_fma_f64 v[38:39], v[54:55], v[6:7], -v[38:39]
	v_mov_b32_e32 v35, v45
	v_lshlrev_b64 v[64:65], 4, v[34:35]
	v_mul_f64 v[32:33], v[36:37], s[0:1]
	v_mul_f64 v[34:35], v[38:39], s[0:1]
	s_waitcnt vmcnt(4) lgkmcnt(4)
	v_mul_f64 v[40:41], v[58:59], v[10:11]
	v_mul_f64 v[42:43], v[58:59], v[8:9]
	s_waitcnt vmcnt(0) lgkmcnt(3)
	v_mul_f64 v[46:47], v[68:69], v[14:15]
	v_mul_f64 v[48:49], v[68:69], v[12:13]
	v_fma_f64 v[40:41], v[56:57], v[8:9], v[40:41]
	v_fma_f64 v[42:43], v[56:57], v[10:11], -v[42:43]
	ds_read_b128 v[0:3], v255 offset:7616
	ds_read_b128 v[4:7], v255 offset:8704
	ds_read_b128 v[8:11], v255 offset:9792
	ds_read_b128 v[28:31], v255 offset:10880
	s_clause 0x7
	buffer_load_dword v72, off, s[60:63], 0 offset:52
	buffer_load_dword v73, off, s[60:63], 0 offset:56
	;; [unrolled: 1-line block ×8, first 2 shown]
	v_fma_f64 v[46:47], v[66:67], v[12:13], v[46:47]
	v_fma_f64 v[48:49], v[66:67], v[14:15], -v[48:49]
	v_mul_f64 v[12:13], v[50:51], s[0:1]
	v_mul_f64 v[14:15], v[52:53], s[0:1]
	;; [unrolled: 1-line block ×4, first 2 shown]
	v_add_co_u32 v42, vcc_lo, s4, v62
	v_add_co_ci_u32_e32 v43, vcc_lo, s5, v63, vcc_lo
	v_add_co_u32 v42, vcc_lo, v42, v64
	v_add_co_ci_u32_e32 v43, vcc_lo, v43, v65, vcc_lo
	;; [unrolled: 2-line block ×3, first 2 shown]
	s_waitcnt vmcnt(4) lgkmcnt(6)
	v_mul_f64 v[56:57], v[74:75], v[16:17]
	s_waitcnt vmcnt(0) lgkmcnt(5)
	v_mul_f64 v[44:45], v[70:71], v[22:23]
	v_mul_f64 v[58:59], v[70:71], v[20:21]
	;; [unrolled: 1-line block ×3, first 2 shown]
	s_clause 0x3
	buffer_load_dword v74, off, s[60:63], 0 offset:100
	buffer_load_dword v75, off, s[60:63], 0 offset:104
	;; [unrolled: 1-line block ×4, first 2 shown]
	v_fma_f64 v[50:51], v[72:73], v[18:19], -v[56:57]
	v_add_co_u32 v56, vcc_lo, v52, s2
	v_add_co_ci_u32_e32 v57, vcc_lo, s6, v53, vcc_lo
	global_store_dwordx4 v[42:43], v[12:15], off
	global_store_dwordx4 v[52:53], v[32:35], off
	;; [unrolled: 1-line block ×3, first 2 shown]
	ds_read_b128 v[12:15], v255 offset:11968
	ds_read_b128 v[36:39], v255 offset:13056
	v_fma_f64 v[20:21], v[68:69], v[20:21], v[44:45]
	v_fma_f64 v[22:23], v[68:69], v[22:23], -v[58:59]
	s_clause 0x3
	buffer_load_dword v68, off, s[60:63], 0 offset:84
	buffer_load_dword v69, off, s[60:63], 0 offset:88
	;; [unrolled: 1-line block ×4, first 2 shown]
	v_fma_f64 v[40:41], v[72:73], v[16:17], v[54:55]
	v_mul_f64 v[18:19], v[48:49], s[0:1]
	v_add_co_u32 v42, vcc_lo, v56, s2
	v_add_co_ci_u32_e32 v43, vcc_lo, s6, v57, vcc_lo
	v_mul_f64 v[16:17], v[46:47], s[0:1]
	v_add_co_u32 v46, vcc_lo, v42, s2
	v_add_co_ci_u32_e32 v47, vcc_lo, s6, v43, vcc_lo
	v_mul_f64 v[34:35], v[50:51], s[0:1]
	v_mul_f64 v[32:33], v[40:41], s[0:1]
	s_waitcnt vmcnt(4) lgkmcnt(6)
	v_mul_f64 v[60:61], v[76:77], v[26:27]
	v_mul_f64 v[54:55], v[76:77], v[24:25]
	v_fma_f64 v[24:25], v[74:75], v[24:25], v[60:61]
	v_fma_f64 v[26:27], v[74:75], v[26:27], -v[54:55]
	s_waitcnt vmcnt(0) lgkmcnt(5)
	v_mul_f64 v[40:41], v[70:71], v[2:3]
	v_mul_f64 v[44:45], v[70:71], v[0:1]
	s_clause 0x3
	buffer_load_dword v70, off, s[60:63], 0 offset:116
	buffer_load_dword v71, off, s[60:63], 0 offset:120
	buffer_load_dword v72, off, s[60:63], 0 offset:124
	buffer_load_dword v73, off, s[60:63], 0 offset:128
	s_waitcnt vmcnt(0) lgkmcnt(4)
	v_mul_f64 v[48:49], v[72:73], v[6:7]
	v_mul_f64 v[50:51], v[72:73], v[4:5]
	s_clause 0x3
	buffer_load_dword v72, off, s[60:63], 0 offset:132
	buffer_load_dword v73, off, s[60:63], 0 offset:136
	buffer_load_dword v74, off, s[60:63], 0 offset:140
	buffer_load_dword v75, off, s[60:63], 0 offset:144
	;; [unrolled: 8-line block ×4, first 2 shown]
	v_fma_f64 v[28:29], v[74:75], v[28:29], v[56:57]
	v_fma_f64 v[30:31], v[74:75], v[30:31], -v[58:59]
	s_waitcnt vmcnt(0) lgkmcnt(1)
	v_mul_f64 v[60:61], v[78:79], v[14:15]
	v_mul_f64 v[62:63], v[78:79], v[12:13]
	s_clause 0x3
	buffer_load_dword v78, off, s[60:63], 0 offset:180
	buffer_load_dword v79, off, s[60:63], 0 offset:184
	;; [unrolled: 1-line block ×4, first 2 shown]
	global_store_dwordx4 v[42:43], v[16:19], off
	global_store_dwordx4 v[46:47], v[32:35], off
	v_fma_f64 v[34:35], v[70:71], v[4:5], v[48:49]
	v_mul_f64 v[16:17], v[20:21], s[0:1]
	v_mul_f64 v[18:19], v[22:23], s[0:1]
	v_fma_f64 v[20:21], v[68:69], v[0:1], v[40:41]
	v_fma_f64 v[22:23], v[68:69], v[2:3], -v[44:45]
	v_fma_f64 v[40:41], v[70:71], v[6:7], -v[50:51]
	v_mul_f64 v[0:1], v[24:25], s[0:1]
	v_mul_f64 v[2:3], v[26:27], s[0:1]
	v_fma_f64 v[24:25], v[72:73], v[8:9], v[52:53]
	v_fma_f64 v[26:27], v[72:73], v[10:11], -v[54:55]
	v_add_co_u32 v32, vcc_lo, v46, s2
	v_add_co_ci_u32_e32 v33, vcc_lo, s6, v47, vcc_lo
	v_add_co_u32 v46, vcc_lo, v32, s2
	v_add_co_ci_u32_e32 v47, vcc_lo, s6, v33, vcc_lo
	v_fma_f64 v[42:43], v[76:77], v[12:13], v[60:61]
	v_fma_f64 v[44:45], v[76:77], v[14:15], -v[62:63]
	v_add_co_u32 v48, vcc_lo, v46, s2
	v_add_co_ci_u32_e32 v49, vcc_lo, s6, v47, vcc_lo
	v_mul_f64 v[8:9], v[34:35], s[0:1]
	v_add_co_u32 v34, vcc_lo, v48, s2
	v_mul_f64 v[4:5], v[20:21], s[0:1]
	v_mul_f64 v[6:7], v[22:23], s[0:1]
	;; [unrolled: 1-line block ×3, first 2 shown]
	v_add_co_ci_u32_e32 v35, vcc_lo, s6, v49, vcc_lo
	v_mul_f64 v[12:13], v[24:25], s[0:1]
	v_mul_f64 v[14:15], v[26:27], s[0:1]
	;; [unrolled: 1-line block ×4, first 2 shown]
	global_store_dwordx4 v[32:33], v[16:19], off
	global_store_dwordx4 v[46:47], v[0:3], off
	v_mul_f64 v[24:25], v[42:43], s[0:1]
	v_mul_f64 v[26:27], v[44:45], s[0:1]
	global_store_dwordx4 v[48:49], v[4:7], off
	s_waitcnt vmcnt(0) lgkmcnt(0)
	v_mul_f64 v[64:65], v[80:81], v[38:39]
	v_mul_f64 v[66:67], v[80:81], v[36:37]
	v_fma_f64 v[36:37], v[78:79], v[36:37], v[64:65]
	v_fma_f64 v[38:39], v[78:79], v[38:39], -v[66:67]
	v_mul_f64 v[28:29], v[36:37], s[0:1]
	v_mul_f64 v[30:31], v[38:39], s[0:1]
	v_add_co_u32 v36, vcc_lo, v34, s2
	v_add_co_ci_u32_e32 v37, vcc_lo, s6, v35, vcc_lo
	v_add_co_u32 v16, vcc_lo, v36, s2
	v_add_co_ci_u32_e32 v17, vcc_lo, s6, v37, vcc_lo
	;; [unrolled: 2-line block ×4, first 2 shown]
	global_store_dwordx4 v[34:35], v[8:11], off
	global_store_dwordx4 v[36:37], v[12:15], off
	;; [unrolled: 1-line block ×5, first 2 shown]
.LBB0_18:
	s_endpgm
	.section	.rodata,"a",@progbits
	.p2align	6, 0x0
	.amdhsa_kernel bluestein_single_fwd_len884_dim1_dp_op_CI_CI
		.amdhsa_group_segment_fixed_size 42432
		.amdhsa_private_segment_fixed_size 1000
		.amdhsa_kernarg_size 104
		.amdhsa_user_sgpr_count 6
		.amdhsa_user_sgpr_private_segment_buffer 1
		.amdhsa_user_sgpr_dispatch_ptr 0
		.amdhsa_user_sgpr_queue_ptr 0
		.amdhsa_user_sgpr_kernarg_segment_ptr 1
		.amdhsa_user_sgpr_dispatch_id 0
		.amdhsa_user_sgpr_flat_scratch_init 0
		.amdhsa_user_sgpr_private_segment_size 0
		.amdhsa_wavefront_size32 1
		.amdhsa_uses_dynamic_stack 0
		.amdhsa_system_sgpr_private_segment_wavefront_offset 1
		.amdhsa_system_sgpr_workgroup_id_x 1
		.amdhsa_system_sgpr_workgroup_id_y 0
		.amdhsa_system_sgpr_workgroup_id_z 0
		.amdhsa_system_sgpr_workgroup_info 0
		.amdhsa_system_vgpr_workitem_id 0
		.amdhsa_next_free_vgpr 256
		.amdhsa_next_free_sgpr 64
		.amdhsa_reserve_vcc 1
		.amdhsa_reserve_flat_scratch 0
		.amdhsa_float_round_mode_32 0
		.amdhsa_float_round_mode_16_64 0
		.amdhsa_float_denorm_mode_32 3
		.amdhsa_float_denorm_mode_16_64 3
		.amdhsa_dx10_clamp 1
		.amdhsa_ieee_mode 1
		.amdhsa_fp16_overflow 0
		.amdhsa_workgroup_processor_mode 1
		.amdhsa_memory_ordered 1
		.amdhsa_forward_progress 0
		.amdhsa_shared_vgpr_count 0
		.amdhsa_exception_fp_ieee_invalid_op 0
		.amdhsa_exception_fp_denorm_src 0
		.amdhsa_exception_fp_ieee_div_zero 0
		.amdhsa_exception_fp_ieee_overflow 0
		.amdhsa_exception_fp_ieee_underflow 0
		.amdhsa_exception_fp_ieee_inexact 0
		.amdhsa_exception_int_div_zero 0
	.end_amdhsa_kernel
	.text
.Lfunc_end0:
	.size	bluestein_single_fwd_len884_dim1_dp_op_CI_CI, .Lfunc_end0-bluestein_single_fwd_len884_dim1_dp_op_CI_CI
                                        ; -- End function
	.section	.AMDGPU.csdata,"",@progbits
; Kernel info:
; codeLenInByte = 33656
; NumSgprs: 66
; NumVgprs: 256
; ScratchSize: 1000
; MemoryBound: 0
; FloatMode: 240
; IeeeMode: 1
; LDSByteSize: 42432 bytes/workgroup (compile time only)
; SGPRBlocks: 8
; VGPRBlocks: 31
; NumSGPRsForWavesPerEU: 66
; NumVGPRsForWavesPerEU: 256
; Occupancy: 4
; WaveLimiterHint : 1
; COMPUTE_PGM_RSRC2:SCRATCH_EN: 1
; COMPUTE_PGM_RSRC2:USER_SGPR: 6
; COMPUTE_PGM_RSRC2:TRAP_HANDLER: 0
; COMPUTE_PGM_RSRC2:TGID_X_EN: 1
; COMPUTE_PGM_RSRC2:TGID_Y_EN: 0
; COMPUTE_PGM_RSRC2:TGID_Z_EN: 0
; COMPUTE_PGM_RSRC2:TIDIG_COMP_CNT: 0
	.text
	.p2alignl 6, 3214868480
	.fill 48, 4, 3214868480
	.type	__hip_cuid_e6f29443c917049,@object ; @__hip_cuid_e6f29443c917049
	.section	.bss,"aw",@nobits
	.globl	__hip_cuid_e6f29443c917049
__hip_cuid_e6f29443c917049:
	.byte	0                               ; 0x0
	.size	__hip_cuid_e6f29443c917049, 1

	.ident	"AMD clang version 19.0.0git (https://github.com/RadeonOpenCompute/llvm-project roc-6.4.0 25133 c7fe45cf4b819c5991fe208aaa96edf142730f1d)"
	.section	".note.GNU-stack","",@progbits
	.addrsig
	.addrsig_sym __hip_cuid_e6f29443c917049
	.amdgpu_metadata
---
amdhsa.kernels:
  - .args:
      - .actual_access:  read_only
        .address_space:  global
        .offset:         0
        .size:           8
        .value_kind:     global_buffer
      - .actual_access:  read_only
        .address_space:  global
        .offset:         8
        .size:           8
        .value_kind:     global_buffer
      - .actual_access:  read_only
        .address_space:  global
        .offset:         16
        .size:           8
        .value_kind:     global_buffer
      - .actual_access:  read_only
        .address_space:  global
        .offset:         24
        .size:           8
        .value_kind:     global_buffer
      - .actual_access:  read_only
        .address_space:  global
        .offset:         32
        .size:           8
        .value_kind:     global_buffer
      - .offset:         40
        .size:           8
        .value_kind:     by_value
      - .address_space:  global
        .offset:         48
        .size:           8
        .value_kind:     global_buffer
      - .address_space:  global
        .offset:         56
        .size:           8
        .value_kind:     global_buffer
      - .address_space:  global
        .offset:         64
        .size:           8
        .value_kind:     global_buffer
      - .address_space:  global
        .offset:         72
        .size:           8
        .value_kind:     global_buffer
      - .offset:         80
        .size:           4
        .value_kind:     by_value
      - .address_space:  global
        .offset:         88
        .size:           8
        .value_kind:     global_buffer
      - .address_space:  global
        .offset:         96
        .size:           8
        .value_kind:     global_buffer
    .group_segment_fixed_size: 42432
    .kernarg_segment_align: 8
    .kernarg_segment_size: 104
    .language:       OpenCL C
    .language_version:
      - 2
      - 0
    .max_flat_workgroup_size: 204
    .name:           bluestein_single_fwd_len884_dim1_dp_op_CI_CI
    .private_segment_fixed_size: 1000
    .sgpr_count:     66
    .sgpr_spill_count: 0
    .symbol:         bluestein_single_fwd_len884_dim1_dp_op_CI_CI.kd
    .uniform_work_group_size: 1
    .uses_dynamic_stack: false
    .vgpr_count:     256
    .vgpr_spill_count: 250
    .wavefront_size: 32
    .workgroup_processor_mode: 1
amdhsa.target:   amdgcn-amd-amdhsa--gfx1030
amdhsa.version:
  - 1
  - 2
...

	.end_amdgpu_metadata
